;; amdgpu-corpus repo=ROCm/rocFFT kind=compiled arch=gfx906 opt=O3
	.text
	.amdgcn_target "amdgcn-amd-amdhsa--gfx906"
	.amdhsa_code_object_version 6
	.protected	fft_rtc_back_len1904_factors_17_2_2_7_4_wgs_119_tpt_119_halfLds_half_ip_CI_sbrr_dirReg ; -- Begin function fft_rtc_back_len1904_factors_17_2_2_7_4_wgs_119_tpt_119_halfLds_half_ip_CI_sbrr_dirReg
	.globl	fft_rtc_back_len1904_factors_17_2_2_7_4_wgs_119_tpt_119_halfLds_half_ip_CI_sbrr_dirReg
	.p2align	8
	.type	fft_rtc_back_len1904_factors_17_2_2_7_4_wgs_119_tpt_119_halfLds_half_ip_CI_sbrr_dirReg,@function
fft_rtc_back_len1904_factors_17_2_2_7_4_wgs_119_tpt_119_halfLds_half_ip_CI_sbrr_dirReg: ; @fft_rtc_back_len1904_factors_17_2_2_7_4_wgs_119_tpt_119_halfLds_half_ip_CI_sbrr_dirReg
; %bb.0:
	s_load_dwordx2 s[2:3], s[4:5], 0x18
	s_load_dwordx4 s[8:11], s[4:5], 0x0
	s_load_dwordx2 s[14:15], s[4:5], 0x50
	v_mul_u32_u24_e32 v1, 0x227, v0
	v_add_u32_sdwa v5, s6, v1 dst_sel:DWORD dst_unused:UNUSED_PAD src0_sel:DWORD src1_sel:WORD_1
	s_waitcnt lgkmcnt(0)
	s_load_dwordx2 s[12:13], s[2:3], 0x0
	v_cmp_lt_u64_e64 s[0:1], s[10:11], 2
	v_mov_b32_e32 v3, 0
	v_mov_b32_e32 v1, 0
	;; [unrolled: 1-line block ×3, first 2 shown]
	s_and_b64 vcc, exec, s[0:1]
	v_mov_b32_e32 v2, 0
	s_cbranch_vccnz .LBB0_8
; %bb.1:
	s_load_dwordx2 s[0:1], s[4:5], 0x10
	s_add_u32 s6, s2, 8
	s_addc_u32 s7, s3, 0
	v_mov_b32_e32 v1, 0
	v_mov_b32_e32 v2, 0
	s_waitcnt lgkmcnt(0)
	s_add_u32 s16, s0, 8
	s_addc_u32 s17, s1, 0
	s_mov_b64 s[18:19], 1
.LBB0_2:                                ; =>This Inner Loop Header: Depth=1
	s_load_dwordx2 s[20:21], s[16:17], 0x0
                                        ; implicit-def: $vgpr7_vgpr8
	s_waitcnt lgkmcnt(0)
	v_or_b32_e32 v4, s21, v6
	v_cmp_ne_u64_e32 vcc, 0, v[3:4]
	s_and_saveexec_b64 s[0:1], vcc
	s_xor_b64 s[22:23], exec, s[0:1]
	s_cbranch_execz .LBB0_4
; %bb.3:                                ;   in Loop: Header=BB0_2 Depth=1
	v_cvt_f32_u32_e32 v4, s20
	v_cvt_f32_u32_e32 v7, s21
	s_sub_u32 s0, 0, s20
	s_subb_u32 s1, 0, s21
	v_mac_f32_e32 v4, 0x4f800000, v7
	v_rcp_f32_e32 v4, v4
	v_mul_f32_e32 v4, 0x5f7ffffc, v4
	v_mul_f32_e32 v7, 0x2f800000, v4
	v_trunc_f32_e32 v7, v7
	v_mac_f32_e32 v4, 0xcf800000, v7
	v_cvt_u32_f32_e32 v7, v7
	v_cvt_u32_f32_e32 v4, v4
	v_mul_lo_u32 v8, s0, v7
	v_mul_hi_u32 v9, s0, v4
	v_mul_lo_u32 v11, s1, v4
	v_mul_lo_u32 v10, s0, v4
	v_add_u32_e32 v8, v9, v8
	v_add_u32_e32 v8, v8, v11
	v_mul_hi_u32 v9, v4, v10
	v_mul_lo_u32 v11, v4, v8
	v_mul_hi_u32 v13, v4, v8
	v_mul_hi_u32 v12, v7, v10
	v_mul_lo_u32 v10, v7, v10
	v_mul_hi_u32 v14, v7, v8
	v_add_co_u32_e32 v9, vcc, v9, v11
	v_addc_co_u32_e32 v11, vcc, 0, v13, vcc
	v_mul_lo_u32 v8, v7, v8
	v_add_co_u32_e32 v9, vcc, v9, v10
	v_addc_co_u32_e32 v9, vcc, v11, v12, vcc
	v_addc_co_u32_e32 v10, vcc, 0, v14, vcc
	v_add_co_u32_e32 v8, vcc, v9, v8
	v_addc_co_u32_e32 v9, vcc, 0, v10, vcc
	v_add_co_u32_e32 v4, vcc, v4, v8
	v_addc_co_u32_e32 v7, vcc, v7, v9, vcc
	v_mul_lo_u32 v8, s0, v7
	v_mul_hi_u32 v9, s0, v4
	v_mul_lo_u32 v10, s1, v4
	v_mul_lo_u32 v11, s0, v4
	v_add_u32_e32 v8, v9, v8
	v_add_u32_e32 v8, v8, v10
	v_mul_lo_u32 v12, v4, v8
	v_mul_hi_u32 v13, v4, v11
	v_mul_hi_u32 v14, v4, v8
	;; [unrolled: 1-line block ×3, first 2 shown]
	v_mul_lo_u32 v11, v7, v11
	v_mul_hi_u32 v9, v7, v8
	v_add_co_u32_e32 v12, vcc, v13, v12
	v_addc_co_u32_e32 v13, vcc, 0, v14, vcc
	v_mul_lo_u32 v8, v7, v8
	v_add_co_u32_e32 v11, vcc, v12, v11
	v_addc_co_u32_e32 v10, vcc, v13, v10, vcc
	v_addc_co_u32_e32 v9, vcc, 0, v9, vcc
	v_add_co_u32_e32 v8, vcc, v10, v8
	v_addc_co_u32_e32 v9, vcc, 0, v9, vcc
	v_add_co_u32_e32 v4, vcc, v4, v8
	v_addc_co_u32_e32 v9, vcc, v7, v9, vcc
	v_mad_u64_u32 v[7:8], s[0:1], v5, v9, 0
	v_mul_hi_u32 v10, v5, v4
	v_add_co_u32_e32 v11, vcc, v10, v7
	v_addc_co_u32_e32 v12, vcc, 0, v8, vcc
	v_mad_u64_u32 v[7:8], s[0:1], v6, v4, 0
	v_mad_u64_u32 v[9:10], s[0:1], v6, v9, 0
	v_add_co_u32_e32 v4, vcc, v11, v7
	v_addc_co_u32_e32 v4, vcc, v12, v8, vcc
	v_addc_co_u32_e32 v7, vcc, 0, v10, vcc
	v_add_co_u32_e32 v4, vcc, v4, v9
	v_addc_co_u32_e32 v9, vcc, 0, v7, vcc
	v_mul_lo_u32 v10, s21, v4
	v_mul_lo_u32 v11, s20, v9
	v_mad_u64_u32 v[7:8], s[0:1], s20, v4, 0
	v_add3_u32 v8, v8, v11, v10
	v_sub_u32_e32 v10, v6, v8
	v_mov_b32_e32 v11, s21
	v_sub_co_u32_e32 v7, vcc, v5, v7
	v_subb_co_u32_e64 v10, s[0:1], v10, v11, vcc
	v_subrev_co_u32_e64 v11, s[0:1], s20, v7
	v_subbrev_co_u32_e64 v10, s[0:1], 0, v10, s[0:1]
	v_cmp_le_u32_e64 s[0:1], s21, v10
	v_cndmask_b32_e64 v12, 0, -1, s[0:1]
	v_cmp_le_u32_e64 s[0:1], s20, v11
	v_cndmask_b32_e64 v11, 0, -1, s[0:1]
	v_cmp_eq_u32_e64 s[0:1], s21, v10
	v_cndmask_b32_e64 v10, v12, v11, s[0:1]
	v_add_co_u32_e64 v11, s[0:1], 2, v4
	v_addc_co_u32_e64 v12, s[0:1], 0, v9, s[0:1]
	v_add_co_u32_e64 v13, s[0:1], 1, v4
	v_addc_co_u32_e64 v14, s[0:1], 0, v9, s[0:1]
	v_subb_co_u32_e32 v8, vcc, v6, v8, vcc
	v_cmp_ne_u32_e64 s[0:1], 0, v10
	v_cmp_le_u32_e32 vcc, s21, v8
	v_cndmask_b32_e64 v10, v14, v12, s[0:1]
	v_cndmask_b32_e64 v12, 0, -1, vcc
	v_cmp_le_u32_e32 vcc, s20, v7
	v_cndmask_b32_e64 v7, 0, -1, vcc
	v_cmp_eq_u32_e32 vcc, s21, v8
	v_cndmask_b32_e32 v7, v12, v7, vcc
	v_cmp_ne_u32_e32 vcc, 0, v7
	v_cndmask_b32_e64 v7, v13, v11, s[0:1]
	v_cndmask_b32_e32 v8, v9, v10, vcc
	v_cndmask_b32_e32 v7, v4, v7, vcc
.LBB0_4:                                ;   in Loop: Header=BB0_2 Depth=1
	s_andn2_saveexec_b64 s[0:1], s[22:23]
	s_cbranch_execz .LBB0_6
; %bb.5:                                ;   in Loop: Header=BB0_2 Depth=1
	v_cvt_f32_u32_e32 v4, s20
	s_sub_i32 s22, 0, s20
	v_rcp_iflag_f32_e32 v4, v4
	v_mul_f32_e32 v4, 0x4f7ffffe, v4
	v_cvt_u32_f32_e32 v4, v4
	v_mul_lo_u32 v7, s22, v4
	v_mul_hi_u32 v7, v4, v7
	v_add_u32_e32 v4, v4, v7
	v_mul_hi_u32 v4, v5, v4
	v_mul_lo_u32 v7, v4, s20
	v_add_u32_e32 v8, 1, v4
	v_sub_u32_e32 v7, v5, v7
	v_subrev_u32_e32 v9, s20, v7
	v_cmp_le_u32_e32 vcc, s20, v7
	v_cndmask_b32_e32 v7, v7, v9, vcc
	v_cndmask_b32_e32 v4, v4, v8, vcc
	v_add_u32_e32 v8, 1, v4
	v_cmp_le_u32_e32 vcc, s20, v7
	v_cndmask_b32_e32 v7, v4, v8, vcc
	v_mov_b32_e32 v8, v3
.LBB0_6:                                ;   in Loop: Header=BB0_2 Depth=1
	s_or_b64 exec, exec, s[0:1]
	v_mul_lo_u32 v4, v8, s20
	v_mul_lo_u32 v11, v7, s21
	v_mad_u64_u32 v[9:10], s[0:1], v7, s20, 0
	s_load_dwordx2 s[0:1], s[6:7], 0x0
	s_add_u32 s18, s18, 1
	v_add3_u32 v4, v10, v11, v4
	v_sub_co_u32_e32 v5, vcc, v5, v9
	v_subb_co_u32_e32 v4, vcc, v6, v4, vcc
	s_waitcnt lgkmcnt(0)
	v_mul_lo_u32 v4, s0, v4
	v_mul_lo_u32 v6, s1, v5
	v_mad_u64_u32 v[1:2], s[0:1], s0, v5, v[1:2]
	s_addc_u32 s19, s19, 0
	s_add_u32 s6, s6, 8
	v_add3_u32 v2, v6, v2, v4
	v_mov_b32_e32 v4, s10
	v_mov_b32_e32 v5, s11
	s_addc_u32 s7, s7, 0
	v_cmp_ge_u64_e32 vcc, s[18:19], v[4:5]
	s_add_u32 s16, s16, 8
	s_addc_u32 s17, s17, 0
	s_cbranch_vccnz .LBB0_9
; %bb.7:                                ;   in Loop: Header=BB0_2 Depth=1
	v_mov_b32_e32 v5, v7
	v_mov_b32_e32 v6, v8
	s_branch .LBB0_2
.LBB0_8:
	v_mov_b32_e32 v8, v6
	v_mov_b32_e32 v7, v5
.LBB0_9:
	s_lshl_b64 s[0:1], s[10:11], 3
	s_add_u32 s0, s2, s0
	s_addc_u32 s1, s3, s1
	s_load_dwordx2 s[2:3], s[0:1], 0x0
	s_load_dwordx2 s[6:7], s[4:5], 0x20
	v_mov_b32_e32 v12, 0
	v_mov_b32_e32 v11, 0
                                        ; implicit-def: $vgpr13
                                        ; implicit-def: $vgpr14
                                        ; implicit-def: $vgpr15
                                        ; implicit-def: $vgpr16
                                        ; implicit-def: $vgpr17
                                        ; implicit-def: $vgpr18
                                        ; implicit-def: $vgpr9
                                        ; implicit-def: $vgpr19
                                        ; implicit-def: $vgpr10
                                        ; implicit-def: $vgpr20
                                        ; implicit-def: $vgpr29
                                        ; implicit-def: $vgpr21
                                        ; implicit-def: $vgpr30
                                        ; implicit-def: $vgpr22
                                        ; implicit-def: $vgpr31
                                        ; implicit-def: $vgpr23
                                        ; implicit-def: $vgpr32
                                        ; implicit-def: $vgpr24
                                        ; implicit-def: $vgpr33
                                        ; implicit-def: $vgpr25
                                        ; implicit-def: $vgpr34
                                        ; implicit-def: $vgpr26
                                        ; implicit-def: $vgpr35
                                        ; implicit-def: $vgpr27
                                        ; implicit-def: $vgpr36
                                        ; implicit-def: $vgpr28
                                        ; implicit-def: $vgpr37
	s_waitcnt lgkmcnt(0)
	v_mad_u64_u32 v[3:4], s[0:1], s2, v7, v[1:2]
	s_mov_b32 s0, 0x226b903
	v_mul_hi_u32 v1, v0, s0
	v_mul_lo_u32 v5, s2, v8
	v_mul_lo_u32 v6, s3, v7
	v_cmp_gt_u64_e32 vcc, s[6:7], v[7:8]
	v_mul_u32_u24_e32 v1, 0x77, v1
	v_sub_u32_e32 v2, v0, v1
	v_add3_u32 v4, v6, v4, v5
	s_movk_i32 s0, 0x70
	v_cmp_gt_u32_e64 s[0:1], s0, v2
	v_lshlrev_b64 v[0:1], 2, v[3:4]
	s_and_b64 s[2:3], vcc, s[0:1]
                                        ; implicit-def: $vgpr3
                                        ; implicit-def: $vgpr4
                                        ; implicit-def: $vgpr5
                                        ; implicit-def: $vgpr7
                                        ; implicit-def: $vgpr8
	s_and_saveexec_b64 s[4:5], s[2:3]
	s_cbranch_execz .LBB0_11
; %bb.10:
	v_mad_u64_u32 v[3:4], s[2:3], s12, v2, 0
	v_add_u32_e32 v8, 0x70, v2
	v_mov_b32_e32 v7, s15
	v_mad_u64_u32 v[4:5], s[2:3], s13, v2, v[4:5]
	v_mad_u64_u32 v[5:6], s[2:3], s12, v8, 0
	v_add_co_u32_e64 v40, s[2:3], s14, v0
	v_addc_co_u32_e64 v41, s[2:3], v7, v1, s[2:3]
	v_mad_u64_u32 v[6:7], s[2:3], s13, v8, v[6:7]
	v_add_u32_e32 v9, 0xe0, v2
	v_mad_u64_u32 v[7:8], s[2:3], s12, v9, 0
	v_lshlrev_b64 v[3:4], 2, v[3:4]
	v_add_u32_e32 v32, 0x3f0, v2
	v_add_co_u32_e64 v12, s[2:3], v40, v3
	v_addc_co_u32_e64 v13, s[2:3], v41, v4, s[2:3]
	v_lshlrev_b64 v[3:4], 2, v[5:6]
	v_mov_b32_e32 v5, v8
	v_mad_u64_u32 v[5:6], s[2:3], s13, v9, v[5:6]
	v_add_u32_e32 v6, 0x150, v2
	v_mad_u64_u32 v[9:10], s[2:3], s12, v6, 0
	v_add_co_u32_e64 v14, s[2:3], v40, v3
	v_mov_b32_e32 v8, v5
	v_mov_b32_e32 v5, v10
	v_addc_co_u32_e64 v15, s[2:3], v41, v4, s[2:3]
	v_lshlrev_b64 v[3:4], 2, v[7:8]
	v_mad_u64_u32 v[5:6], s[2:3], s13, v6, v[5:6]
	v_add_u32_e32 v8, 0x1c0, v2
	v_mad_u64_u32 v[6:7], s[2:3], s12, v8, 0
	v_add_co_u32_e64 v16, s[2:3], v40, v3
	v_mov_b32_e32 v10, v5
	v_mov_b32_e32 v5, v7
	v_addc_co_u32_e64 v17, s[2:3], v41, v4, s[2:3]
	v_lshlrev_b64 v[3:4], 2, v[9:10]
	v_mad_u64_u32 v[7:8], s[2:3], s13, v8, v[5:6]
	v_add_u32_e32 v10, 0x230, v2
	v_mad_u64_u32 v[8:9], s[2:3], s12, v10, 0
	v_add_co_u32_e64 v18, s[2:3], v40, v3
	v_mov_b32_e32 v5, v9
	v_addc_co_u32_e64 v19, s[2:3], v41, v4, s[2:3]
	v_lshlrev_b64 v[3:4], 2, v[6:7]
	v_mad_u64_u32 v[5:6], s[2:3], s13, v10, v[5:6]
	v_add_u32_e32 v10, 0x2a0, v2
	v_mad_u64_u32 v[6:7], s[2:3], s12, v10, 0
	v_add_co_u32_e64 v20, s[2:3], v40, v3
	v_mov_b32_e32 v9, v5
	v_mov_b32_e32 v5, v7
	v_addc_co_u32_e64 v21, s[2:3], v41, v4, s[2:3]
	v_lshlrev_b64 v[3:4], 2, v[8:9]
	v_mad_u64_u32 v[7:8], s[2:3], s13, v10, v[5:6]
	v_add_u32_e32 v10, 0x310, v2
	v_mad_u64_u32 v[8:9], s[2:3], s12, v10, 0
	v_add_co_u32_e64 v22, s[2:3], v40, v3
	v_mov_b32_e32 v5, v9
	v_addc_co_u32_e64 v23, s[2:3], v41, v4, s[2:3]
	v_lshlrev_b64 v[3:4], 2, v[6:7]
	v_mad_u64_u32 v[5:6], s[2:3], s13, v10, v[5:6]
	v_add_co_u32_e64 v24, s[2:3], v40, v3
	v_mov_b32_e32 v9, v5
	v_or_b32_e32 v5, 0x380, v2
	v_addc_co_u32_e64 v25, s[2:3], v41, v4, s[2:3]
	v_mad_u64_u32 v[26:27], s[2:3], s12, v5, 0
	v_lshlrev_b64 v[3:4], 2, v[8:9]
	v_add_co_u32_e64 v28, s[2:3], v40, v3
	v_mov_b32_e32 v3, v27
	v_addc_co_u32_e64 v29, s[2:3], v41, v4, s[2:3]
	v_mad_u64_u32 v[6:7], s[2:3], s13, v5, v[3:4]
	global_load_dword v11, v[12:13], off
	global_load_dword v3, v[14:15], off
	;; [unrolled: 1-line block ×8, first 2 shown]
	v_mad_u64_u32 v[30:31], s[2:3], s12, v32, 0
	v_mov_b32_e32 v27, v6
	v_add_u32_e32 v19, 0x460, v2
	v_mov_b32_e32 v6, v31
	v_lshlrev_b64 v[12:13], 2, v[26:27]
	v_add_u32_e32 v22, 0x4d0, v2
	s_waitcnt vmcnt(3)
	v_mad_u64_u32 v[14:15], s[2:3], s13, v32, v[6:7]
	v_mad_u64_u32 v[15:16], s[2:3], s12, v19, 0
	v_add_co_u32_e64 v12, s[2:3], v40, v12
	v_mov_b32_e32 v6, v16
	v_addc_co_u32_e64 v13, s[2:3], v41, v13, s[2:3]
	v_mad_u64_u32 v[19:20], s[2:3], s13, v19, v[6:7]
	v_mad_u64_u32 v[20:21], s[2:3], s12, v22, 0
	v_mov_b32_e32 v31, v14
	v_lshlrev_b64 v[17:18], 2, v[30:31]
	v_mov_b32_e32 v16, v19
	v_add_co_u32_e64 v17, s[2:3], v40, v17
	v_mov_b32_e32 v6, v21
	v_addc_co_u32_e64 v18, s[2:3], v41, v18, s[2:3]
	v_lshlrev_b64 v[14:15], 2, v[15:16]
	v_mad_u64_u32 v[21:22], s[2:3], s13, v22, v[6:7]
	v_add_u32_e32 v16, 0x540, v2
	v_mad_u64_u32 v[22:23], s[2:3], s12, v16, 0
	v_add_co_u32_e64 v14, s[2:3], v40, v14
	v_mov_b32_e32 v6, v23
	v_addc_co_u32_e64 v15, s[2:3], v41, v15, s[2:3]
	v_mad_u64_u32 v[23:24], s[2:3], s13, v16, v[6:7]
	v_add_u32_e32 v16, 0x5b0, v2
	v_mad_u64_u32 v[24:25], s[2:3], s12, v16, 0
	v_lshlrev_b64 v[19:20], 2, v[20:21]
	v_lshlrev_b64 v[21:22], 2, v[22:23]
	v_add_co_u32_e64 v19, s[2:3], v40, v19
	v_mov_b32_e32 v6, v25
	v_addc_co_u32_e64 v20, s[2:3], v41, v20, s[2:3]
	v_mad_u64_u32 v[25:26], s[2:3], s13, v16, v[6:7]
	v_add_u32_e32 v16, 0x620, v2
	v_mad_u64_u32 v[26:27], s[2:3], s12, v16, 0
	v_add_co_u32_e64 v21, s[2:3], v40, v21
	v_mov_b32_e32 v6, v27
	v_addc_co_u32_e64 v22, s[2:3], v41, v22, s[2:3]
	v_mad_u64_u32 v[27:28], s[2:3], s13, v16, v[6:7]
	v_add_u32_e32 v16, 0x690, v2
	v_mad_u64_u32 v[28:29], s[2:3], s12, v16, 0
	v_lshlrev_b64 v[23:24], 2, v[24:25]
	v_lshlrev_b64 v[25:26], 2, v[26:27]
	v_add_co_u32_e64 v23, s[2:3], v40, v23
	v_mov_b32_e32 v6, v29
	v_addc_co_u32_e64 v24, s[2:3], v41, v24, s[2:3]
	v_mad_u64_u32 v[29:30], s[2:3], s13, v16, v[6:7]
	v_add_co_u32_e64 v25, s[2:3], v40, v25
	v_or_b32_e32 v16, 0x700, v2
	v_addc_co_u32_e64 v26, s[2:3], v41, v26, s[2:3]
	v_mad_u64_u32 v[37:38], s[2:3], s12, v16, 0
	v_lshlrev_b64 v[27:28], 2, v[28:29]
	v_add_co_u32_e64 v27, s[2:3], v40, v27
	v_mov_b32_e32 v6, v38
	v_addc_co_u32_e64 v28, s[2:3], v41, v28, s[2:3]
	v_mad_u64_u32 v[38:39], s[2:3], s13, v16, v[6:7]
	global_load_dword v29, v[12:13], off
	global_load_dword v30, v[17:18], off
	;; [unrolled: 1-line block ×8, first 2 shown]
	v_lshrrev_b32_e32 v14, 16, v4
	v_lshlrev_b64 v[12:13], 2, v[37:38]
	v_lshrrev_b32_e32 v15, 16, v5
	v_add_co_u32_e64 v12, s[2:3], v40, v12
	v_addc_co_u32_e64 v13, s[2:3], v41, v13, s[2:3]
	global_load_dword v37, v[12:13], off
	v_lshrrev_b32_e32 v12, 16, v11
	v_lshrrev_b32_e32 v13, 16, v3
	;; [unrolled: 1-line block ×3, first 2 shown]
	s_waitcnt vmcnt(11)
	v_lshrrev_b32_e32 v17, 16, v8
	s_waitcnt vmcnt(10)
	v_lshrrev_b32_e32 v18, 16, v9
	;; [unrolled: 2-line block ×12, first 2 shown]
.LBB0_11:
	s_or_b64 exec, exec, s[4:5]
	v_sub_f16_e32 v39, v13, v28
	v_add_f16_e32 v38, v3, v37
	s_movk_i32 s2, 0x3b76
	v_mul_f16_e32 v54, 0xb5c8, v39
	v_sub_f16_e32 v41, v14, v27
	v_fma_f16 v6, v38, s2, -v54
	s_movk_i32 s2, 0x39e9
	v_add_f16_e32 v40, v4, v36
	v_mul_f16_e32 v55, 0xb964, v41
	v_add_f16_e32 v6, v11, v6
	v_fma_f16 v42, v40, s2, -v55
	v_sub_f16_e32 v43, v15, v26
	v_add_f16_e32 v6, v42, v6
	s_movk_i32 s2, 0x3722
	v_add_f16_e32 v42, v5, v35
	v_mul_f16_e32 v56, 0xbb29, v43
	v_fma_f16 v44, v42, s2, -v56
	v_sub_f16_e32 v45, v16, v25
	v_add_f16_e32 v6, v44, v6
	s_movk_i32 s2, 0x2de8
	v_add_f16_e32 v44, v7, v34
	v_mul_f16_e32 v57, 0xbbf7, v45
	v_fma_f16 v46, v44, s2, -v57
	v_sub_f16_e32 v47, v17, v24
	v_add_f16_e32 v6, v46, v6
	s_mov_b32 s2, 0xb461
	v_add_f16_e32 v46, v8, v33
	v_mul_f16_e32 v58, 0xbbb2, v47
	v_fma_f16 v48, v46, s2, -v58
	v_sub_f16_e32 v49, v18, v23
	v_add_f16_e32 v6, v48, v6
	s_mov_b32 s2, 0xb8d2
	;; [unrolled: 6-line block ×4, first 2 shown]
	v_add_f16_e32 v52, v29, v30
	v_mul_f16_e32 v61, 0xb1e1, v53
	v_fma_f16 v62, v52, s2, -v61
	v_add_f16_e32 v6, v62, v6
	s_mov_b32 s4, 0xb5c8
	s_mov_b32 s5, 0xbb29
	;; [unrolled: 1-line block ×6, first 2 shown]
	s_and_saveexec_b64 s[2:3], s[0:1]
	s_cbranch_execz .LBB0_13
; %bb.12:
	s_mov_b32 s18, 0x372239e9
	v_pk_mul_f16 v65, v38, s18 op_sel_hi:[0,1]
	s_mov_b32 s18, 0xbb29b964
	s_mov_b32 s19, 0xb8d22de8
	v_pk_mul_f16 v66, v40, s19 op_sel_hi:[0,1]
	s_mov_b32 s19, 0xba62bbf7
	s_mov_b32 s20, 0xbbddb8d2
	v_pk_fma_f16 v63, v39, s18, v65 op_sel_hi:[0,1,1]
	v_pk_mul_f16 v67, v42, s20 op_sel_hi:[0,1]
	s_mov_b32 s20, 0x31e1ba62
	s_mov_b32 s21, 0xb461bbdd
	v_pk_add_f16 v63, v11, v63 op_sel_hi:[0,1]
	v_pk_fma_f16 v64, v41, s19, v66 op_sel_hi:[0,1,1]
	v_pk_mul_f16 v68, v44, s21 op_sel_hi:[0,1]
	s_mov_b32 s21, 0x3bb2b1e1
	s_mov_b32 s22, 0x39e9bacd
	v_pk_add_f16 v63, v64, v63
	v_pk_fma_f16 v64, v43, s20, v67 op_sel_hi:[0,1,1]
	v_pk_mul_f16 v69, v46, s22 op_sel_hi:[0,1]
	s_mov_b32 s22, 0x39643836
	s_mov_b32 s23, 0x3b76b461
	v_pk_add_f16 v63, v64, v63
	v_pk_fma_f16 v64, v45, s21, v68 op_sel_hi:[0,1,1]
	v_pk_mul_f16 v70, v48, s23 op_sel_hi:[0,1]
	s_mov_b32 s23, 0xb5c83bb2
	s_mov_b32 s24, 0x2de83722
	v_pk_add_f16 v63, v64, v63
	v_pk_fma_f16 v64, v47, s22, v69 op_sel_hi:[0,1,1]
	s_mov_b32 s16, 0xb4612de8
	v_pk_mul_f16 v71, v50, s24 op_sel_hi:[0,1]
	s_mov_b32 s24, 0xbbf73b29
	v_pk_add_f16 v63, v64, v63
	v_pk_fma_f16 v64, v49, s23, v70 op_sel_hi:[0,1,1]
	v_pk_mul_f16 v62, v38, s16 op_sel_hi:[0,1]
	s_mov_b32 s16, 0xbbb2bbf7
	s_mov_b32 s17, 0xbacdbbdd
	v_pk_add_f16 v63, v64, v63
	v_pk_fma_f16 v64, v51, s24, v71 op_sel_hi:[0,1,1]
	v_pk_add_f16 v63, v64, v63
	v_pk_mul_f16 v64, v40, s17 op_sel_hi:[0,1]
	s_mov_b32 s17, 0x3836b1e1
	v_pk_fma_f16 v62, v39, s16, v62 op_sel_hi:[0,1,1]
	s_mov_b32 s18, 0x39e9b461
	v_pk_add_f16 v62, v11, v62 op_sel_hi:[0,1]
	v_pk_fma_f16 v64, v41, s17, v64 op_sel_hi:[0,1,1]
	v_pk_add_f16 v62, v64, v62
	v_pk_mul_f16 v64, v42, s18 op_sel_hi:[0,1]
	s_mov_b32 s16, 0x39643bb2
	s_mov_b32 s17, 0x37223b76
	v_pk_fma_f16 v64, v43, s16, v64 op_sel_hi:[0,1,1]
	v_pk_add_f16 v62, v64, v62
	v_pk_mul_f16 v64, v44, s17 op_sel_hi:[0,1]
	s_mov_b32 s16, 0xbb2935c8
	s_mov_b32 s17, 0xbbdd3722
	;; [unrolled: 5-line block ×6, first 2 shown]
	s_mov_b32 s18, 0xb83635c8
	v_pk_mul_f16 v73, v52, s17 op_sel_hi:[0,1]
	v_pk_fma_f16 v72, v53, s16, v62 op_sel_hi:[0,1,1]
	v_pk_fma_f16 v62, v53, s18, v73 op_sel_hi:[0,1,1]
	s_mov_b32 s16, 0xbacdb8d2
	v_pk_add_f16 v62, v62, v63
	v_pk_add_f16 v63, v72, v64
	s_mov_b32 s17, 0xb836ba62
	s_mov_b32 s18, 0x3722b461
	v_pk_mul_f16 v72, v38, s16 op_sel_hi:[0,1]
	s_mov_b32 s19, 0x3b293bb2
	v_pk_fma_f16 v64, v39, s17, v72 op_sel_hi:[0,1,1]
	v_pk_mul_f16 v74, v40, s18 op_sel_hi:[0,1]
	v_pk_add_f16 v64, v11, v64 op_sel_hi:[0,1]
	v_pk_fma_f16 v75, v41, s19, v74 op_sel_hi:[0,1,1]
	s_mov_b32 s16, 0x2de83b76
	v_pk_add_f16 v64, v75, v64
	s_mov_b32 s18, 0xbbf7b5c8
	v_pk_mul_f16 v75, v42, s16 op_sel_hi:[0,1]
	v_pk_fma_f16 v76, v43, s18, v75 op_sel_hi:[0,1,1]
	s_mov_b32 s16, 0xb8d2bacd
	v_pk_add_f16 v64, v76, v64
	s_mov_b32 s20, 0x3a62b836
	v_pk_mul_f16 v76, v44, s16 op_sel_hi:[0,1]
	;; [unrolled: 5-line block ×6, first 2 shown]
	v_pk_fma_f16 v81, v53, s24, v80 op_sel_hi:[0,1,1]
	v_pk_add_f16 v64, v81, v64
	v_mul_f16_e32 v81, 0x3b76, v38
	v_add_f16_e32 v54, v54, v81
	v_mul_f16_e32 v81, 0x39e9, v40
	v_add_f16_e32 v55, v55, v81
	v_add_f16_e32 v54, v11, v54
	v_add_f16_e32 v54, v55, v54
	v_mul_f16_e32 v55, 0x3722, v42
	v_add_f16_e32 v55, v56, v55
	v_add_f16_e32 v54, v55, v54
	v_mul_f16_e32 v55, 0x2de8, v44
	v_add_f16_e32 v55, v57, v55
	v_add_f16_e32 v54, v55, v54
	;; [unrolled: 3-line block ×6, first 2 shown]
	v_add_f16_e32 v55, v11, v3
	v_add_f16_e32 v55, v55, v4
	;; [unrolled: 1-line block ×16, first 2 shown]
	v_pack_b32_f16 v61, v55, v54
	v_mul_f16_e32 v55, 0xbbdd, v38
	s_movk_i32 s16, 0x35c8
	v_fma_f16 v56, v39, s11, v55
	v_mul_f16_e32 v57, 0x3b76, v40
	v_add_f16_e32 v56, v11, v56
	v_fma_f16 v58, v41, s16, v57
	v_add_f16_e32 v56, v58, v56
	v_mul_f16_e32 v58, 0xbacd, v42
	v_fma_f16 v59, v43, s7, v58
	v_add_f16_e32 v56, v59, v56
	s_movk_i32 s11, 0x3964
	v_mul_f16_e32 v59, 0x39e9, v44
	v_fma_f16 v60, v45, s11, v59
	v_mad_u32_u24 v54, v2, 34, 0
	v_add_f16_e32 v56, v60, v56
	v_mul_f16_e32 v60, 0xb8d2, v46
	ds_write_b128 v54, v[61:64]
	v_fma_f16 v61, v47, s10, v60
	v_add_f16_e32 v56, v61, v56
	s_movk_i32 s10, 0x3b29
	v_mul_f16_e32 v61, 0x3722, v48
	v_fma_f16 v62, v49, s10, v61
	v_add_f16_e32 v56, v62, v56
	v_mul_f16_e32 v62, 0xb461, v50
	v_fma_f16 v63, v51, s6, v62
	v_add_f16_e32 v56, v63, v56
	s_movk_i32 s10, 0x3bf7
	v_mul_f16_e32 v63, 0x2de8, v52
	v_fma_f16 v64, v53, s10, v63
	v_add_f16_e32 v56, v64, v56
	v_fma_f16 v64, v39, s11, v65
	v_add_f16_e32 v64, v11, v64
	v_fma_f16 v65, v41, s10, v66
	s_movk_i32 s10, 0x3a62
	v_add_f16_e32 v64, v65, v64
	v_fma_f16 v65, v43, s10, v67
	s_movk_i32 s10, 0x31e1
	v_add_f16_e32 v64, v65, v64
	v_fma_f16 v65, v45, s10, v68
	v_add_f16_e32 v64, v65, v64
	v_fma_f16 v65, v47, s7, v69
	;; [unrolled: 2-line block ×5, first 2 shown]
	v_add_f16_e32 v64, v65, v64
	s_mov_b32 s4, 0xffff
	v_mul_f16_e32 v65, 0xb1e1, v39
	v_pk_mul_f16 v66, v39, s17 op_sel_hi:[0,1]
	v_bfi_b32 v55, s4, v55, v72
	v_bfi_b32 v65, s4, v65, v66
	v_pk_add_f16 v55, v55, v65 neg_lo:[0,1] neg_hi:[0,1]
	v_mul_f16_e32 v65, 0x35c8, v41
	v_pk_mul_f16 v66, v41, s19 op_sel_hi:[0,1]
	v_bfi_b32 v57, s4, v57, v74
	v_bfi_b32 v65, s4, v65, v66
	v_pk_add_f16 v57, v57, v65 neg_lo:[0,1] neg_hi:[0,1]
	v_pk_add_f16 v55, v11, v55 op_sel_hi:[0,1]
	v_mul_f16_e32 v65, 0xb836, v43
	v_pk_add_f16 v55, v57, v55
	v_mul_f16_e32 v57, 0x3964, v45
	v_pk_mul_f16 v66, v43, s18 op_sel_hi:[0,1]
	v_pk_mul_f16 v67, v45, s20 op_sel_hi:[0,1]
	v_bfi_b32 v58, s4, v58, v75
	v_bfi_b32 v65, s4, v65, v66
	v_bfi_b32 v59, s4, v59, v76
	v_bfi_b32 v57, s4, v57, v67
	v_mul_f16_e32 v66, 0xba62, v47
	v_pk_add_f16 v58, v58, v65 neg_lo:[0,1] neg_hi:[0,1]
	v_pk_add_f16 v57, v59, v57 neg_lo:[0,1] neg_hi:[0,1]
	v_pk_mul_f16 v59, v47, s21 op_sel_hi:[0,1]
	v_pk_add_f16 v55, v58, v55
	v_bfi_b32 v60, s4, v60, v77
	v_bfi_b32 v59, s4, v66, v59
	v_mul_f16_e32 v65, 0x3b29, v49
	v_pk_add_f16 v55, v57, v55
	v_pk_mul_f16 v57, v49, s22 op_sel_hi:[0,1]
	v_pk_add_f16 v59, v60, v59 neg_lo:[0,1] neg_hi:[0,1]
	v_pk_add_f16 v55, v59, v55
	v_bfi_b32 v59, s4, v61, v78
	v_bfi_b32 v57, s4, v65, v57
	v_mul_f16_e32 v58, 0xbbb2, v51
	v_pk_mul_f16 v68, v51, s23 op_sel_hi:[0,1]
	v_pk_add_f16 v57, v59, v57 neg_lo:[0,1] neg_hi:[0,1]
	v_pk_add_f16 v55, v57, v55
	v_bfi_b32 v57, s4, v62, v79
	v_bfi_b32 v58, s4, v58, v68
	v_mul_f16_e32 v67, 0x3bf7, v53
	v_pk_mul_f16 v66, v53, s24 op_sel_hi:[0,1]
	v_pk_add_f16 v57, v57, v58 neg_lo:[0,1] neg_hi:[0,1]
	v_pk_add_f16 v55, v57, v55
	v_bfi_b32 v57, s4, v63, v80
	v_bfi_b32 v58, s4, v67, v66
	v_pk_add_f16 v57, v57, v58 neg_lo:[0,1] neg_hi:[0,1]
	s_mov_b32 s5, 0x3bb23a62
	v_pk_add_f16 v55, v57, v55
	s_mov_b32 s4, 0xb461b8d2
	v_pk_mul_f16 v57, v39, s5 op_sel_hi:[0,1]
	s_mov_b32 s5, 0xb836bbb2
	v_pk_fma_f16 v57, v38, s4, v57 op_sel_hi:[0,1,1]
	s_mov_b32 s4, 0xbacdb461
	v_pk_mul_f16 v58, v41, s5 op_sel_hi:[0,1]
	v_pk_add_f16 v57, v11, v57 op_sel_hi:[0,1]
	v_pk_fma_f16 v58, v40, s4, v58 op_sel_hi:[0,1,1]
	s_mov_b32 s5, 0xb96435c8
	v_pk_add_f16 v57, v58, v57
	s_mov_b32 s4, 0x39e93b76
	v_pk_mul_f16 v58, v43, s5 op_sel_hi:[0,1]
	v_pk_fma_f16 v58, v42, s4, v58 op_sel_hi:[0,1,1]
	s_mov_b32 s5, 0x3b293836
	v_pk_add_f16 v57, v58, v57
	s_mov_b32 s4, 0x3722bacd
	v_pk_mul_f16 v58, v45, s5 op_sel_hi:[0,1]
	;; [unrolled: 5-line block ×6, first 2 shown]
	s_mov_b32 s5, 0x3b293bf7
	v_pk_fma_f16 v58, v52, s4, v58 op_sel_hi:[0,1,1]
	s_mov_b32 s4, 0x37222de8
	v_pk_mul_f16 v39, v39, s5 op_sel_hi:[0,1]
	v_pk_fma_f16 v38, v38, s4, v39 op_sel_hi:[0,1,1]
	s_mov_b32 s5, 0x3a6231e1
	v_pk_add_f16 v11, v11, v38 op_sel_hi:[0,1]
	s_mov_b32 s4, 0xb8d2bbdd
	v_pk_mul_f16 v38, v41, s5 op_sel_hi:[0,1]
	v_pk_fma_f16 v38, v40, s4, v38 op_sel_hi:[0,1,1]
	s_mov_b32 s5, 0xb1e1bbb2
	v_pk_add_f16 v11, v38, v11
	s_mov_b32 s4, 0xbbddb461
	v_pk_mul_f16 v38, v43, s5 op_sel_hi:[0,1]
	v_pk_fma_f16 v38, v42, s4, v38 op_sel_hi:[0,1,1]
	s_mov_b32 s5, 0xbbb2b5c8
	v_pk_add_f16 v11, v38, v11
	;; [unrolled: 5-line block ×6, first 2 shown]
	s_mov_b32 s4, 0xbacd39e9
	v_pk_mul_f16 v38, v53, s5 op_sel_hi:[0,1]
	v_pk_fma_f16 v38, v52, s4, v38 op_sel_hi:[0,1,1]
	v_pk_add_f16 v57, v58, v57
	v_pk_add_f16 v11, v38, v11
	v_alignbit_b32 v39, v57, v55, 16
	v_pack_b32_f16 v38, v56, v55
	v_alignbit_b32 v41, v64, v11, 16
	v_alignbit_b32 v40, v11, v57, 16
	ds_write_b128 v54, v[38:41] offset:16
	ds_write_b16 v54, v6 offset:32
.LBB0_13:
	s_or_b64 exec, exec, s[2:3]
	v_sub_f16_e32 v62, v3, v37
	s_mov_b32 s2, 0xb964b5c8
	v_add_f16_e32 v61, v13, v28
	v_sub_f16_e32 v60, v4, v36
	s_mov_b32 s17, 0x39e93b76
	v_pk_mul_f16 v4, v62, s2 op_sel_hi:[0,1]
	s_mov_b32 s2, 0xbbf7b964
	v_add_f16_e32 v59, v14, v27
	v_sub_f16_e32 v58, v5, v35
	s_mov_b32 s4, 0x2de839e9
	v_pk_mul_f16 v5, v60, s2 op_sel_hi:[0,1]
	s_mov_b32 s2, 0xba62bb29
	v_pk_fma_f16 v3, v61, s17, v4 op_sel_hi:[0,1,1]
	v_add_f16_e32 v57, v15, v26
	v_sub_f16_e32 v56, v7, v34
	v_sub_f16_e32 v50, v10, v31
	s_mov_b32 s5, 0xb8d23722
	v_pk_mul_f16 v7, v58, s2 op_sel_hi:[0,1]
	s_mov_b32 s2, 0xb1e1bbf7
	v_pk_add_f16 v3, v12, v3 op_sel_hi:[0,1]
	v_pk_fma_f16 v10, v59, s4, v5 op_sel_hi:[0,1,1]
	v_add_f16_e32 v55, v16, v25
	v_sub_f16_e32 v54, v8, v33
	s_mov_b32 s6, 0xbbdd2de8
	v_pk_mul_f16 v8, v56, s2 op_sel_hi:[0,1]
	s_mov_b32 s2, 0x3836bbb2
	v_pk_add_f16 v3, v10, v3
	v_pk_fma_f16 v10, v57, s5, v7 op_sel_hi:[0,1,1]
	v_add_f16_e32 v53, v17, v24
	v_sub_f16_e32 v52, v9, v32
	s_mov_b32 s7, 0xbacdb461
	v_pk_mul_f16 v9, v54, s2 op_sel_hi:[0,1]
	s_mov_b32 s2, 0x3bb2ba62
	v_pk_add_f16 v3, v10, v3
	v_pk_fma_f16 v10, v55, s6, v8 op_sel_hi:[0,1,1]
	v_add_f16_e32 v51, v18, v23
	s_mov_b32 s10, 0xb461b8d2
	v_pk_mul_f16 v44, v52, s2 op_sel_hi:[0,1]
	s_mov_b32 s2, 0x3b29b836
	v_pk_add_f16 v3, v10, v3
	v_pk_fma_f16 v10, v53, s7, v9 op_sel_hi:[0,1,1]
	v_add_f16_e32 v49, v19, v22
	s_mov_b32 s11, 0x3722bacd
	v_pk_mul_f16 v45, v50, s2 op_sel_hi:[0,1]
	v_pk_add_f16 v3, v10, v3
	v_pk_fma_f16 v10, v51, s10, v44 op_sel_hi:[0,1,1]
	v_pk_add_f16 v3, v10, v3
	v_pk_fma_f16 v10, v49, s11, v45 op_sel_hi:[0,1,1]
	v_pk_add_f16 v10, v10, v3
	v_lshl_add_u32 v3, v2, 1, 0
	v_sub_f16_e32 v48, v29, v30
	s_waitcnt lgkmcnt(0)
	s_barrier
	ds_read_u16 v35, v3
	ds_read_u16 v34, v3 offset:238
	ds_read_u16 v33, v3 offset:476
	;; [unrolled: 1-line block ×15, first 2 shown]
	s_mov_b32 s2, 0x35c8b1e1
	v_add_f16_e32 v47, v20, v21
	s_mov_b32 s16, 0x3b76bbdd
	v_pk_mul_f16 v46, v48, s2 op_sel_hi:[0,1]
	v_pk_fma_f16 v63, v47, s16, v46 op_sel_hi:[0,1,1]
	v_pk_add_f16 v10, v63, v10
	s_waitcnt lgkmcnt(0)
	s_barrier
	s_and_saveexec_b64 s[2:3], s[0:1]
	s_cbranch_execz .LBB0_15
; %bb.14:
	s_mov_b32 s0, 0x5040100
	v_perm_b32 v64, v12, v12, s0
	v_add_f16_e32 v12, v12, v13
	v_add_f16_e32 v12, v12, v14
	;; [unrolled: 1-line block ×6, first 2 shown]
	v_pack_b32_f16 v63, v61, v61
	v_pk_mul_f16 v61, v61, s17 op_sel_hi:[0,1]
	v_add_f16_e32 v12, v12, v19
	v_pack_b32_f16 v65, v59, v59
	v_pk_mul_f16 v59, v59, s4 op_sel_hi:[0,1]
	v_add_f16_e32 v12, v12, v20
	v_pk_add_f16 v4, v61, v4 neg_lo:[0,1] neg_hi:[0,1]
	v_pack_b32_f16 v66, v57, v57
	v_pk_mul_f16 v57, v57, s5 op_sel_hi:[0,1]
	v_add_f16_e32 v12, v12, v21
	v_pk_add_f16 v4, v64, v4
	v_pk_add_f16 v5, v59, v5 neg_lo:[0,1] neg_hi:[0,1]
	v_pack_b32_f16 v67, v55, v55
	v_pk_mul_f16 v55, v55, s6 op_sel_hi:[0,1]
	v_add_f16_e32 v12, v12, v22
	v_pk_add_f16 v4, v5, v4
	;; [unrolled: 5-line block ×6, first 2 shown]
	v_pk_add_f16 v5, v49, v45 neg_lo:[0,1] neg_hi:[0,1]
	v_pack_b32_f16 v62, v62, v62
	v_add_f16_e32 v12, v12, v27
	v_pk_add_f16 v4, v5, v4
	v_pk_add_f16 v5, v47, v46 neg_lo:[0,1] neg_hi:[0,1]
	s_mov_b32 s1, 0xbbf7bb29
	v_pack_b32_f16 v60, v60, v60
	v_add_f16_e32 v16, v12, v28
	v_pk_add_f16 v12, v5, v4
	s_mov_b32 s0, 0x2de83722
	v_pk_mul_f16 v4, v62, s1
	s_mov_b32 s4, 0xb1e1ba62
	v_pk_fma_f16 v5, v63, s0, v4 neg_lo:[0,0,1] neg_hi:[0,0,1]
	s_mov_b32 s1, 0xbbddb8d2
	v_pk_mul_f16 v7, v60, s4
	v_pack_b32_f16 v58, v58, v58
	v_pk_add_f16 v5, v64, v5
	v_pk_fma_f16 v8, v65, s1, v7 neg_lo:[0,0,1] neg_hi:[0,0,1]
	s_mov_b32 s5, 0x3bb231e1
	v_pk_add_f16 v5, v8, v5
	s_mov_b32 s4, 0xb461bbdd
	v_pk_mul_f16 v8, v58, s5
	v_pack_b32_f16 v56, v56, v56
	v_pk_fma_f16 v9, v66, s4, v8 neg_lo:[0,0,1] neg_hi:[0,0,1]
	s_mov_b32 s6, 0x35c83bb2
	v_pack_b32_f16 v54, v54, v54
	v_pk_add_f16 v5, v9, v5
	s_mov_b32 s5, 0x3b76b461
	v_pk_mul_f16 v9, v56, s6
	s_mov_b32 s7, 0xbb293964
	v_pack_b32_f16 v52, v52, v52
	v_pk_fma_f16 v13, v67, s5, v9 neg_lo:[0,0,1] neg_hi:[0,0,1]
	s_mov_b32 s6, 0x372239e9
	v_pk_mul_f16 v14, v54, s7
	s_mov_b32 s10, 0xb836b5c8
	v_pack_b32_f16 v50, v50, v50
	v_pk_add_f16 v5, v13, v5
	v_pk_fma_f16 v13, v68, s6, v14 neg_lo:[0,0,1] neg_hi:[0,0,1]
	s_mov_b32 s7, 0xbacd3b76
	v_pk_mul_f16 v15, v52, s10
	s_mov_b32 s11, 0x3a62bbf7
	v_pack_b32_f16 v48, v48, v48
	v_pk_add_f16 v5, v13, v5
	v_pk_fma_f16 v13, v69, s7, v15 neg_lo:[0,0,1] neg_hi:[0,0,1]
	s_mov_b32 s10, 0xb8d22de8
	v_pk_mul_f16 v17, v50, s11
	s_mov_b32 s16, 0x3964b836
	v_pk_add_f16 v5, v13, v5
	v_pk_fma_f16 v13, v70, s10, v17 neg_lo:[0,0,1] neg_hi:[0,0,1]
	s_mov_b32 s11, 0x39e9bacd
	v_pk_mul_f16 v18, v48, s16
	v_pk_add_f16 v5, v13, v5
	v_pk_fma_f16 v13, v71, s11, v18 neg_lo:[0,0,1] neg_hi:[0,0,1]
	v_pk_fma_f16 v4, v63, s0, v4
	v_pk_add_f16 v13, v13, v5
	v_pk_add_f16 v4, v64, v4
	v_pk_fma_f16 v5, v65, s1, v7
	v_pk_add_f16 v4, v5, v4
	v_pk_fma_f16 v5, v66, s4, v8
	;; [unrolled: 2-line block ×7, first 2 shown]
	s_mov_b32 s1, 0xba62bbb2
	v_pk_add_f16 v4, v5, v4
	s_mov_b32 s0, 0xb8d2b461
	v_pk_mul_f16 v5, v62, s1
	s_mov_b32 s4, 0x3bb23836
	v_pk_fma_f16 v7, v63, s0, v5 neg_lo:[0,0,1] neg_hi:[0,0,1]
	s_mov_b32 s1, 0xb461bacd
	v_pk_mul_f16 v8, v60, s4
	v_pk_add_f16 v7, v64, v7
	v_pk_fma_f16 v9, v65, s1, v8 neg_lo:[0,0,1] neg_hi:[0,0,1]
	s_mov_b32 s5, 0xb5c83964
	v_pk_add_f16 v7, v9, v7
	s_mov_b32 s4, 0x3b7639e9
	v_pk_mul_f16 v9, v58, s5
	s_mov_b32 s6, 0xb836bb29
	v_pk_fma_f16 v14, v66, s4, v9 neg_lo:[0,0,1] neg_hi:[0,0,1]
	s_mov_b32 s5, 0xbacd3722
	v_pk_mul_f16 v15, v56, s6
	s_mov_b32 s7, 0x3bf7b1e1
	v_pk_add_f16 v7, v14, v7
	v_pk_fma_f16 v14, v67, s5, v15 neg_lo:[0,0,1] neg_hi:[0,0,1]
	s_mov_b32 s6, 0x2de8bbdd
	v_pk_mul_f16 v17, v54, s7
	s_mov_b32 s10, 0xb9643bf7
	v_pk_add_f16 v7, v14, v7
	;; [unrolled: 5-line block ×4, first 2 shown]
	v_pk_fma_f16 v14, v70, s10, v19 neg_lo:[0,0,1] neg_hi:[0,0,1]
	s_mov_b32 s11, 0x3722b8d2
	v_pk_mul_f16 v20, v48, s16
	v_pk_add_f16 v7, v14, v7
	v_pk_fma_f16 v14, v71, s11, v20 neg_lo:[0,0,1] neg_hi:[0,0,1]
	v_pk_fma_f16 v5, v63, s0, v5
	v_pk_add_f16 v14, v14, v7
	v_pk_add_f16 v5, v64, v5
	v_pk_fma_f16 v7, v65, s1, v8
	v_pk_add_f16 v5, v7, v5
	v_pk_fma_f16 v7, v66, s4, v9
	;; [unrolled: 2-line block ×7, first 2 shown]
	s_mov_b32 s1, 0xb1e1b836
	v_pk_add_f16 v5, v7, v5
	s_mov_b32 s0, 0xbbddbacd
	v_pk_mul_f16 v7, v62, s1
	s_mov_b32 s4, 0x35c83b29
	v_pk_fma_f16 v8, v63, s0, v7 neg_lo:[0,0,1] neg_hi:[0,0,1]
	s_mov_b32 s1, 0x3b763722
	v_pk_mul_f16 v9, v60, s4
	s_mov_b32 s5, 0xb836bbf7
	v_pk_add_f16 v8, v64, v8
	v_pk_fma_f16 v15, v65, s1, v9 neg_lo:[0,0,1] neg_hi:[0,0,1]
	s_mov_b32 s4, 0xbacd2de8
	v_pk_mul_f16 v17, v58, s5
	s_mov_b32 s6, 0x39643a62
	v_pk_add_f16 v8, v15, v8
	;; [unrolled: 5-line block ×6, first 2 shown]
	v_pk_fma_f16 v15, v70, s10, v21 neg_lo:[0,0,1] neg_hi:[0,0,1]
	s_mov_b32 s11, 0x2de8b461
	v_pk_mul_f16 v22, v48, s16
	v_pk_add_f16 v8, v15, v8
	v_pk_fma_f16 v15, v71, s11, v22 neg_lo:[0,0,1] neg_hi:[0,0,1]
	v_pk_fma_f16 v7, v63, s0, v7
	v_pk_add_f16 v15, v15, v8
	v_pk_add_f16 v7, v64, v7
	v_pk_fma_f16 v8, v65, s1, v9
	v_pk_add_f16 v7, v8, v7
	v_pk_fma_f16 v8, v66, s4, v17
	;; [unrolled: 2-line block ×7, first 2 shown]
	v_pk_add_f16 v7, v8, v7
	v_lshl_add_u32 v8, v2, 5, v3
	ds_write_b16 v8, v16
	ds_write_b128 v8, v[12:15] offset:2
	v_alignbit_b32 v12, v7, v7, 16
	v_alignbit_b32 v13, v5, v5, 16
	;; [unrolled: 1-line block ×4, first 2 shown]
	ds_write_b128 v8, v[12:15] offset:18
.LBB0_15:
	s_or_b64 exec, exec, s[2:3]
	s_movk_i32 s0, 0xf1
	v_mul_lo_u16_sdwa v45, v2, s0 dst_sel:DWORD dst_unused:UNUSED_PAD src0_sel:BYTE_0 src1_sel:DWORD
	v_lshrrev_b16_e32 v46, 12, v45
	v_mul_lo_u16_e32 v47, 17, v46
	v_sub_u16_e32 v47, v2, v47
	v_mov_b32_e32 v48, 2
	v_lshlrev_b32_sdwa v49, v48, v47 dst_sel:DWORD dst_unused:UNUSED_PAD src0_sel:DWORD src1_sel:BYTE_0
	s_waitcnt lgkmcnt(0)
	s_barrier
	ds_read_u16 v13, v3
	ds_read_u16 v14, v3 offset:1904
	ds_read_u16 v16, v3 offset:238
	;; [unrolled: 1-line block ×15, first 2 shown]
	global_load_dword v49, v49, s[8:9]
	v_add_u32_e32 v8, 0x77, v2
	v_add_u32_e32 v5, 0xee, v2
	v_add_u32_e32 v4, 0x165, v2
	v_add_u32_e32 v9, 0x1dc, v2
	v_add_u32_e32 v7, 0x253, v2
	v_add_u32_e32 v12, 0x2ca, v2
	v_add_u32_e32 v15, 0x341, v2
	v_mul_u32_u24_e32 v46, 0x44, v46
	s_waitcnt vmcnt(0) lgkmcnt(14)
	v_mul_f16_sdwa v50, v14, v49 dst_sel:DWORD dst_unused:UNUSED_PAD src0_sel:DWORD src1_sel:WORD_1
	v_fma_f16 v50, v43, v49, v50
	v_mul_f16_sdwa v43, v43, v49 dst_sel:DWORD dst_unused:UNUSED_PAD src0_sel:DWORD src1_sel:WORD_1
	v_fma_f16 v14, v14, v49, -v43
	v_mul_lo_u16_sdwa v43, v8, s0 dst_sel:DWORD dst_unused:UNUSED_PAD src0_sel:BYTE_0 src1_sel:DWORD
	v_lshrrev_b16_e32 v49, 12, v43
	v_mul_lo_u16_e32 v51, 17, v49
	v_sub_u16_e32 v51, v8, v51
	v_lshlrev_b32_sdwa v52, v48, v51 dst_sel:DWORD dst_unused:UNUSED_PAD src0_sel:DWORD src1_sel:BYTE_0
	global_load_dword v52, v52, s[8:9]
	s_mov_b32 s0, 0xf0f1
	s_waitcnt vmcnt(0) lgkmcnt(12)
	v_mul_f16_sdwa v53, v17, v52 dst_sel:DWORD dst_unused:UNUSED_PAD src0_sel:DWORD src1_sel:WORD_1
	v_fma_f16 v53, v42, v52, v53
	v_mul_f16_sdwa v42, v42, v52 dst_sel:DWORD dst_unused:UNUSED_PAD src0_sel:DWORD src1_sel:WORD_1
	v_fma_f16 v17, v17, v52, -v42
	v_mul_u32_u24_sdwa v52, v5, s0 dst_sel:DWORD dst_unused:UNUSED_PAD src0_sel:WORD_0 src1_sel:DWORD
	v_lshrrev_b32_e32 v42, 20, v52
	v_mul_lo_u16_e32 v54, 17, v42
	v_sub_u16_e32 v54, v5, v54
	v_lshlrev_b32_e32 v55, 2, v54
	global_load_dword v55, v55, s[8:9]
	s_waitcnt vmcnt(0) lgkmcnt(10)
	v_mul_f16_sdwa v56, v19, v55 dst_sel:DWORD dst_unused:UNUSED_PAD src0_sel:DWORD src1_sel:WORD_1
	v_fma_f16 v56, v41, v55, v56
	v_mul_f16_sdwa v41, v41, v55 dst_sel:DWORD dst_unused:UNUSED_PAD src0_sel:DWORD src1_sel:WORD_1
	v_fma_f16 v19, v19, v55, -v41
	v_mul_u32_u24_sdwa v55, v4, s0 dst_sel:DWORD dst_unused:UNUSED_PAD src0_sel:WORD_0 src1_sel:DWORD
	v_lshrrev_b32_e32 v41, 20, v55
	v_mul_lo_u16_e32 v57, 17, v41
	v_sub_u16_e32 v57, v4, v57
	v_lshlrev_b32_e32 v58, 2, v57
	global_load_dword v58, v58, s[8:9]
	;; [unrolled: 11-line block ×3, first 2 shown]
	v_lshrrev_b32_e32 v58, 21, v58
	s_waitcnt vmcnt(0) lgkmcnt(6)
	v_mul_f16_sdwa v62, v23, v61 dst_sel:DWORD dst_unused:UNUSED_PAD src0_sel:DWORD src1_sel:WORD_1
	v_fma_f16 v62, v39, v61, v62
	v_mul_f16_sdwa v39, v39, v61 dst_sel:DWORD dst_unused:UNUSED_PAD src0_sel:DWORD src1_sel:WORD_1
	v_fma_f16 v23, v23, v61, -v39
	v_mul_u32_u24_sdwa v61, v7, s0 dst_sel:DWORD dst_unused:UNUSED_PAD src0_sel:WORD_0 src1_sel:DWORD
	v_lshrrev_b32_e32 v39, 20, v61
	v_mul_lo_u16_e32 v63, 17, v39
	v_sub_u16_e32 v63, v7, v63
	v_lshlrev_b32_e32 v64, 2, v63
	global_load_dword v64, v64, s[8:9]
	v_sub_f16_e32 v23, v22, v23
	s_waitcnt vmcnt(0) lgkmcnt(4)
	v_mul_f16_sdwa v65, v25, v64 dst_sel:DWORD dst_unused:UNUSED_PAD src0_sel:DWORD src1_sel:WORD_1
	v_fma_f16 v65, v38, v64, v65
	v_mul_f16_sdwa v38, v38, v64 dst_sel:DWORD dst_unused:UNUSED_PAD src0_sel:DWORD src1_sel:WORD_1
	v_fma_f16 v25, v25, v64, -v38
	v_mul_u32_u24_sdwa v64, v12, s0 dst_sel:DWORD dst_unused:UNUSED_PAD src0_sel:WORD_0 src1_sel:DWORD
	v_lshrrev_b32_e32 v38, 20, v64
	v_mul_lo_u16_e32 v66, 17, v38
	v_sub_u16_e32 v66, v12, v66
	v_lshlrev_b32_e32 v67, 2, v66
	global_load_dword v67, v67, s[8:9]
	v_sub_f16_e32 v25, v24, v25
	v_fma_f16 v24, v24, 2.0, -v25
	v_lshrrev_b32_e32 v74, 21, v64
	s_waitcnt vmcnt(0) lgkmcnt(2)
	v_mul_f16_sdwa v68, v27, v67 dst_sel:DWORD dst_unused:UNUSED_PAD src0_sel:DWORD src1_sel:WORD_1
	v_fma_f16 v68, v37, v67, v68
	v_mul_f16_sdwa v37, v37, v67 dst_sel:DWORD dst_unused:UNUSED_PAD src0_sel:DWORD src1_sel:WORD_1
	v_fma_f16 v27, v27, v67, -v37
	v_mul_u32_u24_sdwa v67, v15, s0 dst_sel:DWORD dst_unused:UNUSED_PAD src0_sel:WORD_0 src1_sel:DWORD
	v_lshrrev_b32_e32 v37, 20, v67
	v_mul_lo_u16_e32 v69, 17, v37
	v_sub_u16_e32 v69, v15, v69
	v_lshlrev_b32_e32 v70, 2, v69
	global_load_dword v70, v70, s[8:9]
	s_waitcnt vmcnt(0) lgkmcnt(0)
	s_barrier
	v_sub_f16_e32 v27, v26, v27
	v_fma_f16 v26, v26, 2.0, -v27
	v_lshrrev_b32_e32 v76, 21, v67
	v_cmp_gt_u32_e64 s[0:1], 34, v2
	v_mul_f16_sdwa v71, v44, v70 dst_sel:DWORD dst_unused:UNUSED_PAD src0_sel:DWORD src1_sel:WORD_1
	v_fma_f16 v71, v36, v70, v71
	v_mul_f16_sdwa v36, v36, v70 dst_sel:DWORD dst_unused:UNUSED_PAD src0_sel:DWORD src1_sel:WORD_1
	v_fma_f16 v36, v44, v70, -v36
	v_mov_b32_e32 v70, 1
	v_sub_f16_e32 v44, v35, v50
	v_lshlrev_b32_sdwa v47, v70, v47 dst_sel:DWORD dst_unused:UNUSED_PAD src0_sel:DWORD src1_sel:BYTE_0
	v_sub_f16_e32 v50, v13, v14
	v_fma_f16 v14, v35, 2.0, -v44
	v_add3_u32 v46, 0, v46, v47
	v_fma_f16 v35, v13, 2.0, -v50
	v_sub_f16_e32 v13, v34, v53
	ds_write_b16 v46, v14
	ds_write_b16 v46, v44 offset:34
	v_mul_u32_u24_e32 v14, 0x44, v49
	v_lshlrev_b32_sdwa v44, v70, v51 dst_sel:DWORD dst_unused:UNUSED_PAD src0_sel:DWORD src1_sel:BYTE_0
	v_sub_f16_e32 v53, v16, v17
	v_fma_f16 v17, v34, 2.0, -v13
	v_add3_u32 v44, 0, v14, v44
	v_sub_f16_e32 v34, v33, v56
	ds_write_b16 v44, v17
	ds_write_b16 v44, v13 offset:34
	v_mul_u32_u24_e32 v13, 0x44, v42
	v_lshlrev_b32_e32 v14, 1, v54
	v_sub_f16_e32 v56, v18, v19
	v_fma_f16 v19, v33, 2.0, -v34
	v_sub_f16_e32 v33, v32, v59
	v_sub_f16_e32 v59, v20, v21
	v_add3_u32 v42, 0, v13, v14
	v_mul_u32_u24_e32 v13, 0x44, v41
	v_lshlrev_b32_e32 v14, 1, v57
	v_fma_f16 v21, v32, 2.0, -v33
	v_fma_f16 v32, v20, 2.0, -v59
	v_sub_f16_e32 v20, v31, v62
	ds_write_b16 v42, v19
	ds_write_b16 v42, v34 offset:34
	v_add3_u32 v34, 0, v13, v14
	v_mul_u32_u24_e32 v13, 0x44, v40
	v_lshlrev_b32_e32 v14, 1, v60
	v_fma_f16 v31, v31, 2.0, -v20
	v_fma_f16 v62, v22, 2.0, -v23
	v_sub_f16_e32 v22, v30, v65
	ds_write_b16 v34, v21
	ds_write_b16 v34, v33 offset:34
	v_add3_u32 v33, 0, v13, v14
	v_mul_u32_u24_e32 v13, 0x44, v39
	v_lshlrev_b32_e32 v14, 1, v63
	v_fma_f16 v30, v30, 2.0, -v22
	v_sub_f16_e32 v65, v29, v68
	ds_write_b16 v33, v31
	ds_write_b16 v33, v20 offset:34
	v_add3_u32 v31, 0, v13, v14
	v_mul_u32_u24_e32 v13, 0x44, v38
	v_lshlrev_b32_e32 v14, 1, v66
	;; [unrolled: 7-line block ×3, first 2 shown]
	v_fma_f16 v16, v16, 2.0, -v53
	v_sub_f16_e32 v36, v28, v36
	v_fma_f16 v11, v11, 2.0, -v68
	ds_write_b16 v30, v29
	ds_write_b16 v30, v65 offset:34
	v_add3_u32 v29, 0, v13, v14
	v_fma_f16 v18, v18, 2.0, -v56
	v_fma_f16 v28, v28, 2.0, -v36
	ds_write_b16 v29, v11
	ds_write_b16 v29, v68 offset:34
	s_waitcnt lgkmcnt(0)
	s_barrier
	ds_read_u16 v47, v3
	ds_read_u16 v11, v3 offset:1904
	ds_read_u16 v49, v3 offset:238
	;; [unrolled: 1-line block ×15, first 2 shown]
	s_waitcnt lgkmcnt(0)
	s_barrier
	ds_write_b16 v46, v35
	ds_write_b16 v46, v50 offset:34
	ds_write_b16 v44, v16
	ds_write_b16 v44, v53 offset:34
	;; [unrolled: 2-line block ×8, first 2 shown]
	v_lshrrev_b16_e32 v16, 13, v45
	v_lshrrev_b16_e32 v31, 13, v43
	v_lshrrev_b32_e32 v45, 21, v52
	v_lshrrev_b32_e32 v52, 21, v55
	v_mul_lo_u16_e32 v18, 34, v16
	v_mul_lo_u16_e32 v32, 34, v31
	;; [unrolled: 1-line block ×4, first 2 shown]
	v_sub_u16_e32 v26, v2, v18
	v_sub_u16_e32 v32, v8, v32
	v_sub_u16_e32 v46, v5, v46
	v_sub_u16_e32 v53, v4, v51
	v_lshlrev_b32_sdwa v18, v48, v26 dst_sel:DWORD dst_unused:UNUSED_PAD src0_sel:DWORD src1_sel:BYTE_0
	v_lshlrev_b32_sdwa v43, v48, v32 dst_sel:DWORD dst_unused:UNUSED_PAD src0_sel:DWORD src1_sel:BYTE_0
	v_lshlrev_b32_e32 v48, 2, v46
	v_lshlrev_b32_e32 v51, 2, v53
	s_waitcnt lgkmcnt(0)
	s_barrier
	ds_read_u16 v23, v3
	ds_read_u16 v34, v3 offset:1904
	ds_read_u16 v24, v3 offset:238
	;; [unrolled: 1-line block ×15, first 2 shown]
	global_load_dword v42, v18, s[8:9] offset:68
	global_load_dword v44, v43, s[8:9] offset:68
	;; [unrolled: 1-line block ×3, first 2 shown]
	v_mul_lo_u16_e32 v62, 34, v76
	global_load_dword v51, v51, s[8:9] offset:68
	v_sub_u16_e32 v15, v15, v62
	v_lshlrev_b32_e32 v62, 2, v15
	global_load_dword v62, v62, s[8:9] offset:68
	v_lshrrev_b32_e32 v71, 21, v61
	v_mul_u32_u24_e32 v16, 0x88, v16
	v_lshlrev_b32_sdwa v26, v70, v26 dst_sel:DWORD dst_unused:UNUSED_PAD src0_sel:DWORD src1_sel:BYTE_0
	v_lshlrev_b32_e32 v15, 1, v15
	s_waitcnt vmcnt(3) lgkmcnt(12)
	v_mul_f16_sdwa v43, v35, v44 dst_sel:DWORD dst_unused:UNUSED_PAD src0_sel:DWORD src1_sel:WORD_1
	s_waitcnt vmcnt(2) lgkmcnt(10)
	v_mul_f16_sdwa v48, v36, v50 dst_sel:DWORD dst_unused:UNUSED_PAD src0_sel:DWORD src1_sel:WORD_1
	v_fma_f16 v43, v13, v44, v43
	s_waitcnt vmcnt(1) lgkmcnt(8)
	v_mul_f16_sdwa v55, v37, v51 dst_sel:DWORD dst_unused:UNUSED_PAD src0_sel:DWORD src1_sel:WORD_1
	v_fma_f16 v56, v17, v51, v55
	v_mul_lo_u16_e32 v55, 34, v58
	v_sub_u16_e32 v59, v9, v55
	v_lshlrev_b32_e32 v55, 2, v59
	global_load_dword v55, v55, s[8:9] offset:68
	s_waitcnt vmcnt(1) lgkmcnt(0)
	v_mul_f16_sdwa v64, v41, v62 dst_sel:DWORD dst_unused:UNUSED_PAD src0_sel:DWORD src1_sel:WORD_1
	v_fma_f16 v64, v22, v62, v64
	v_fma_f16 v48, v14, v50, v48
	v_sub_f16_e32 v43, v49, v43
	v_sub_f16_e32 v48, v54, v48
	;; [unrolled: 1-line block ×3, first 2 shown]
	v_fma_f16 v49, v49, 2.0, -v43
	v_fma_f16 v54, v54, 2.0, -v48
	;; [unrolled: 1-line block ×3, first 2 shown]
	s_waitcnt vmcnt(0)
	v_mul_f16_sdwa v60, v38, v55 dst_sel:DWORD dst_unused:UNUSED_PAD src0_sel:DWORD src1_sel:WORD_1
	v_fma_f16 v69, v19, v55, v60
	v_mul_lo_u16_e32 v60, 34, v71
	v_sub_u16_e32 v72, v7, v60
	v_lshlrev_b32_e32 v60, 2, v72
	global_load_dword v60, v60, s[8:9] offset:68
	v_sub_f16_e32 v69, v63, v69
	v_fma_f16 v77, v63, 2.0, -v69
	v_add3_u32 v63, 0, v16, v26
	v_mul_u32_u24_e32 v16, 0x88, v31
	v_lshlrev_b32_sdwa v26, v70, v32 dst_sel:DWORD dst_unused:UNUSED_PAD src0_sel:DWORD src1_sel:BYTE_0
                                        ; implicit-def: $vgpr31
                                        ; implicit-def: $vgpr32
	s_waitcnt vmcnt(0)
	v_mul_f16_sdwa v61, v39, v60 dst_sel:DWORD dst_unused:UNUSED_PAD src0_sel:DWORD src1_sel:WORD_1
	v_fma_f16 v73, v20, v60, v61
	v_mul_lo_u16_e32 v61, 34, v74
	v_sub_u16_e32 v75, v12, v61
	v_lshlrev_b32_e32 v12, 2, v75
	global_load_dword v61, v12, s[8:9] offset:68
	v_mul_f16_sdwa v18, v34, v42 dst_sel:DWORD dst_unused:UNUSED_PAD src0_sel:DWORD src1_sel:WORD_1
	v_fma_f16 v18, v11, v42, v18
	v_sub_f16_e32 v67, v47, v18
	v_sub_f16_e32 v73, v65, v73
	;; [unrolled: 1-line block ×3, first 2 shown]
	v_add3_u32 v64, 0, v16, v26
	v_mul_u32_u24_e32 v16, 0x88, v45
	v_lshlrev_b32_e32 v26, 1, v46
	v_fma_f16 v78, v65, 2.0, -v73
	v_add3_u32 v65, 0, v16, v26
	v_mul_u32_u24_e32 v16, 0x88, v52
	v_lshlrev_b32_e32 v26, 1, v53
	v_fma_f16 v47, v47, 2.0, -v67
	s_waitcnt vmcnt(0)
	s_barrier
	ds_write_b16 v63, v47
	ds_write_b16 v63, v67 offset:68
	ds_write_b16 v64, v49
	ds_write_b16 v64, v43 offset:68
	;; [unrolled: 2-line block ×3, first 2 shown]
                                        ; implicit-def: $vgpr49
	v_mul_f16_sdwa v12, v40, v61 dst_sel:DWORD dst_unused:UNUSED_PAD src0_sel:DWORD src1_sel:WORD_1
	v_fma_f16 v12, v21, v61, v12
	v_sub_f16_e32 v79, v66, v12
	v_fma_f16 v80, v66, 2.0, -v79
	v_add3_u32 v66, 0, v16, v26
	v_mul_u32_u24_e32 v16, 0x88, v58
	v_lshlrev_b32_e32 v26, 1, v59
	v_add3_u32 v67, 0, v16, v26
	v_mul_u32_u24_e32 v16, 0x88, v71
	v_lshlrev_b32_e32 v26, 1, v72
	v_fma_f16 v12, v68, 2.0, -v18
	v_add3_u32 v68, 0, v16, v26
	v_mul_u32_u24_e32 v16, 0x88, v74
	v_lshlrev_b32_e32 v26, 1, v75
	ds_write_b16 v66, v57
	ds_write_b16 v66, v56 offset:68
	ds_write_b16 v67, v77
	ds_write_b16 v67, v69 offset:68
	v_add3_u32 v69, 0, v16, v26
	v_mul_u32_u24_e32 v16, 0x88, v76
	v_add3_u32 v70, 0, v16, v15
	ds_write_b16 v68, v78
	ds_write_b16 v68, v73 offset:68
	ds_write_b16 v69, v80
	ds_write_b16 v69, v79 offset:68
	;; [unrolled: 2-line block ×3, first 2 shown]
	s_waitcnt lgkmcnt(0)
	s_barrier
	ds_read_u16 v16, v3
	ds_read_u16 v59, v3 offset:544
	ds_read_u16 v58, v3 offset:1088
	;; [unrolled: 1-line block ×13, first 2 shown]
                                        ; implicit-def: $vgpr26
	s_and_saveexec_b64 s[2:3], s[0:1]
	s_cbranch_execz .LBB0_17
; %bb.16:
	ds_read_u16 v12, v3 offset:476
	ds_read_u16 v18, v3 offset:1020
	;; [unrolled: 1-line block ×7, first 2 shown]
.LBB0_17:
	s_or_b64 exec, exec, s[2:3]
	v_mul_f16_sdwa v11, v11, v42 dst_sel:DWORD dst_unused:UNUSED_PAD src0_sel:DWORD src1_sel:WORD_1
	v_mul_f16_sdwa v14, v14, v50 dst_sel:DWORD dst_unused:UNUSED_PAD src0_sel:DWORD src1_sel:WORD_1
	;; [unrolled: 1-line block ×4, first 2 shown]
	v_fma_f16 v11, v34, v42, -v11
	v_mul_f16_sdwa v13, v13, v44 dst_sel:DWORD dst_unused:UNUSED_PAD src0_sel:DWORD src1_sel:WORD_1
	v_fma_f16 v14, v36, v50, -v14
	v_mul_f16_sdwa v17, v17, v51 dst_sel:DWORD dst_unused:UNUSED_PAD src0_sel:DWORD src1_sel:WORD_1
	;; [unrolled: 2-line block ×4, first 2 shown]
	v_fma_f16 v13, v35, v44, -v13
	v_fma_f16 v17, v37, v51, -v17
	;; [unrolled: 1-line block ×4, first 2 shown]
	v_sub_f16_e32 v34, v23, v11
	v_sub_f16_e32 v14, v25, v14
	;; [unrolled: 1-line block ×4, first 2 shown]
	v_fma_f16 v23, v23, 2.0, -v34
	v_sub_f16_e32 v13, v24, v13
	v_fma_f16 v25, v25, 2.0, -v14
	v_sub_f16_e32 v17, v27, v17
	v_fma_f16 v28, v28, 2.0, -v35
	v_sub_f16_e32 v20, v29, v20
	v_fma_f16 v30, v30, 2.0, -v21
	v_sub_f16_e32 v19, v33, v22
	v_fma_f16 v24, v24, 2.0, -v13
	v_fma_f16 v27, v27, 2.0, -v17
	;; [unrolled: 1-line block ×4, first 2 shown]
	s_waitcnt lgkmcnt(0)
	s_barrier
	ds_write_b16 v63, v23
	ds_write_b16 v63, v34 offset:68
	ds_write_b16 v64, v24
	ds_write_b16 v64, v13 offset:68
	;; [unrolled: 2-line block ×8, first 2 shown]
	s_waitcnt lgkmcnt(0)
	s_barrier
	ds_read_u16 v14, v3
	ds_read_u16 v30, v3 offset:2176
	ds_read_u16 v22, v3 offset:1870
	;; [unrolled: 1-line block ×13, first 2 shown]
                                        ; implicit-def: $vgpr55
                                        ; implicit-def: $vgpr51
                                        ; implicit-def: $vgpr50
                                        ; implicit-def: $vgpr21
	s_and_saveexec_b64 s[2:3], s[0:1]
	s_cbranch_execz .LBB0_19
; %bb.18:
	ds_read_u16 v11, v3 offset:476
	ds_read_u16 v19, v3 offset:1020
	;; [unrolled: 1-line block ×7, first 2 shown]
.LBB0_19:
	s_or_b64 exec, exec, s[2:3]
	s_movk_i32 s2, 0x44
	v_add_u32_e32 v20, 0xffffffbc, v2
	v_cmp_gt_u32_e64 s[2:3], s2, v2
	v_cndmask_b32_e64 v62, v20, v2, s[2:3]
	v_mul_i32_i24_e32 v37, 6, v62
	v_mov_b32_e32 v38, 0
	v_lshlrev_b64 v[37:38], 2, v[37:38]
	v_mov_b32_e32 v20, s9
	v_add_co_u32_e64 v41, s[2:3], s8, v37
	v_addc_co_u32_e64 v42, s[2:3], v20, v38, s[2:3]
	global_load_dwordx4 v[37:40], v[41:42], off offset:204
	s_movk_i32 s2, 0x79
	s_movk_i32 s5, 0x2b26
	s_mov_b32 s4, 0xbb00
	s_mov_b32 s6, 0xbcab
	s_movk_i32 s7, 0x39e0
	s_mov_b32 s10, 0xb9e0
	s_mov_b32 s11, 0xb574
	s_movk_i32 s17, 0x3574
	s_mov_b32 s16, 0xb70e
	v_lshlrev_b32_e32 v62, 1, v62
	s_waitcnt vmcnt(0)
	v_mul_f16_sdwa v24, v59, v37 dst_sel:DWORD dst_unused:UNUSED_PAD src0_sel:DWORD src1_sel:WORD_1
	v_mul_f16_sdwa v27, v58, v38 dst_sel:DWORD dst_unused:UNUSED_PAD src0_sel:DWORD src1_sel:WORD_1
	s_waitcnt lgkmcnt(6)
	v_mul_f16_sdwa v20, v23, v37 dst_sel:DWORD dst_unused:UNUSED_PAD src0_sel:DWORD src1_sel:WORD_1
	v_fma_f16 v24, v23, v37, -v24
	v_mul_f16_sdwa v23, v25, v38 dst_sel:DWORD dst_unused:UNUSED_PAD src0_sel:DWORD src1_sel:WORD_1
	v_fma_f16 v27, v25, v38, -v27
	v_mul_f16_sdwa v25, v28, v39 dst_sel:DWORD dst_unused:UNUSED_PAD src0_sel:DWORD src1_sel:WORD_1
	v_mul_f16_sdwa v29, v56, v39 dst_sel:DWORD dst_unused:UNUSED_PAD src0_sel:DWORD src1_sel:WORD_1
	v_fma_f16 v23, v58, v38, v23
	v_fma_f16 v25, v56, v39, v25
	v_fma_f16 v28, v28, v39, -v29
	global_load_dwordx2 v[38:39], v[41:42], off offset:220
	v_fma_f16 v20, v59, v37, v20
	v_mul_f16_sdwa v29, v30, v40 dst_sel:DWORD dst_unused:UNUSED_PAD src0_sel:DWORD src1_sel:WORD_1
	v_mul_f16_sdwa v37, v57, v40 dst_sel:DWORD dst_unused:UNUSED_PAD src0_sel:DWORD src1_sel:WORD_1
	v_fma_f16 v29, v57, v40, v29
	v_fma_f16 v30, v30, v40, -v37
	s_waitcnt vmcnt(0)
	v_mul_f16_sdwa v40, v54, v38 dst_sel:DWORD dst_unused:UNUSED_PAD src0_sel:DWORD src1_sel:WORD_1
	s_waitcnt lgkmcnt(1)
	v_mul_f16_sdwa v37, v35, v38 dst_sel:DWORD dst_unused:UNUSED_PAD src0_sel:DWORD src1_sel:WORD_1
	v_fma_f16 v40, v35, v38, -v40
	v_mul_f16_sdwa v35, v33, v39 dst_sel:DWORD dst_unused:UNUSED_PAD src0_sel:DWORD src1_sel:WORD_1
	v_fma_f16 v42, v53, v39, v35
	v_mul_f16_sdwa v35, v53, v39 dst_sel:DWORD dst_unused:UNUSED_PAD src0_sel:DWORD src1_sel:WORD_1
	v_fma_f16 v44, v33, v39, -v35
	v_mul_lo_u16_sdwa v33, v8, s2 dst_sel:DWORD dst_unused:UNUSED_PAD src0_sel:BYTE_0 src1_sel:DWORD
	v_fma_f16 v37, v54, v38, v37
	v_lshrrev_b16_e32 v54, 13, v33
	v_mul_lo_u16_e32 v33, 0x44, v54
	v_sub_u16_e32 v63, v8, v33
	v_mov_b32_e32 v33, 6
	v_mul_u32_u24_sdwa v33, v63, v33 dst_sel:DWORD dst_unused:UNUSED_PAD src0_sel:BYTE_0 src1_sel:DWORD
	v_lshlrev_b32_e32 v53, 2, v33
	global_load_dwordx4 v[56:59], v53, s[8:9] offset:204
	s_mov_b32 s2, 0xf0f1
	s_waitcnt vmcnt(0)
	v_mul_f16_sdwa v33, v34, v56 dst_sel:DWORD dst_unused:UNUSED_PAD src0_sel:DWORD src1_sel:WORD_1
	v_fma_f16 v33, v52, v56, v33
	v_mul_f16_sdwa v35, v52, v56 dst_sel:DWORD dst_unused:UNUSED_PAD src0_sel:DWORD src1_sel:WORD_1
	global_load_dwordx2 v[52:53], v53, s[8:9] offset:220
	v_mul_f16_sdwa v38, v45, v57 dst_sel:DWORD dst_unused:UNUSED_PAD src0_sel:DWORD src1_sel:WORD_1
	v_mul_f16_sdwa v39, v47, v58 dst_sel:DWORD dst_unused:UNUSED_PAD src0_sel:DWORD src1_sel:WORD_1
	v_fma_f16 v35, v34, v56, -v35
	v_mul_f16_sdwa v34, v36, v57 dst_sel:DWORD dst_unused:UNUSED_PAD src0_sel:DWORD src1_sel:WORD_1
	v_fma_f16 v38, v36, v57, -v38
	v_mul_f16_sdwa v36, v22, v58 dst_sel:DWORD dst_unused:UNUSED_PAD src0_sel:DWORD src1_sel:WORD_1
	v_fma_f16 v39, v22, v58, -v39
	s_waitcnt lgkmcnt(0)
	v_mul_f16_sdwa v22, v61, v59 dst_sel:DWORD dst_unused:UNUSED_PAD src0_sel:DWORD src1_sel:WORD_1
	v_fma_f16 v41, v43, v59, v22
	v_mul_f16_sdwa v22, v43, v59 dst_sel:DWORD dst_unused:UNUSED_PAD src0_sel:DWORD src1_sel:WORD_1
	v_fma_f16 v43, v61, v59, -v22
	v_fma_f16 v34, v45, v57, v34
	v_fma_f16 v36, v47, v58, v36
	v_add_f16_e32 v65, v36, v41
	v_sub_f16_e32 v66, v43, v39
	s_waitcnt vmcnt(0)
	v_mul_f16_sdwa v22, v60, v52 dst_sel:DWORD dst_unused:UNUSED_PAD src0_sel:DWORD src1_sel:WORD_1
	v_fma_f16 v45, v46, v52, v22
	v_mul_f16_sdwa v22, v46, v52 dst_sel:DWORD dst_unused:UNUSED_PAD src0_sel:DWORD src1_sel:WORD_1
	v_fma_f16 v46, v60, v52, -v22
	v_mul_f16_sdwa v22, v17, v53 dst_sel:DWORD dst_unused:UNUSED_PAD src0_sel:DWORD src1_sel:WORD_1
	v_fma_f16 v47, v48, v53, v22
	v_mul_f16_sdwa v22, v48, v53 dst_sel:DWORD dst_unused:UNUSED_PAD src0_sel:DWORD src1_sel:WORD_1
	v_fma_f16 v48, v17, v53, -v22
	v_mul_u32_u24_sdwa v17, v5, s2 dst_sel:DWORD dst_unused:UNUSED_PAD src0_sel:WORD_0 src1_sel:DWORD
	v_lshrrev_b32_e32 v17, 22, v17
	v_mul_lo_u16_e32 v17, 0x44, v17
	v_sub_u16_e32 v60, v5, v17
	v_mul_u32_u24_e32 v17, 6, v60
	v_lshlrev_b32_e32 v52, 2, v17
	global_load_dwordx4 v[56:59], v52, s[8:9] offset:204
	s_movk_i32 s2, 0x43
	global_load_dwordx2 v[52:53], v52, s[8:9] offset:220
	v_cmp_lt_u32_e64 s[2:3], s2, v2
	s_waitcnt vmcnt(0)
	s_barrier
	v_mul_f16_sdwa v17, v19, v56 dst_sel:DWORD dst_unused:UNUSED_PAD src0_sel:DWORD src1_sel:WORD_1
	v_fma_f16 v17, v18, v56, v17
	v_mul_f16_sdwa v18, v18, v56 dst_sel:DWORD dst_unused:UNUSED_PAD src0_sel:DWORD src1_sel:WORD_1
	v_fma_f16 v19, v19, v56, -v18
	v_mul_f16_sdwa v18, v10, v57 dst_sel:DWORD dst_unused:UNUSED_PAD src0_sel:DWORD src1_sel:WORD_1
	v_fma_f16 v18, v6, v57, v18
	v_mul_f16_sdwa v6, v6, v57 dst_sel:DWORD dst_unused:UNUSED_PAD src0_sel:DWORD src1_sel:WORD_1
	v_fma_f16 v10, v10, v57, -v6
	v_mul_f16_sdwa v6, v21, v58 dst_sel:DWORD dst_unused:UNUSED_PAD src0_sel:DWORD src1_sel:WORD_1
	v_fma_f16 v6, v49, v58, v6
	v_mul_f16_sdwa v22, v49, v58 dst_sel:DWORD dst_unused:UNUSED_PAD src0_sel:DWORD src1_sel:WORD_1
	v_mul_f16_sdwa v49, v50, v52 dst_sel:DWORD dst_unused:UNUSED_PAD src0_sel:DWORD src1_sel:WORD_1
	v_fma_f16 v49, v32, v52, v49
	v_mul_f16_sdwa v32, v32, v52 dst_sel:DWORD dst_unused:UNUSED_PAD src0_sel:DWORD src1_sel:WORD_1
	v_fma_f16 v32, v50, v52, -v32
	v_mul_f16_sdwa v50, v51, v53 dst_sel:DWORD dst_unused:UNUSED_PAD src0_sel:DWORD src1_sel:WORD_1
	v_fma_f16 v21, v21, v58, -v22
	v_mul_f16_sdwa v22, v55, v59 dst_sel:DWORD dst_unused:UNUSED_PAD src0_sel:DWORD src1_sel:WORD_1
	v_fma_f16 v50, v31, v53, v50
	v_mul_f16_sdwa v31, v31, v53 dst_sel:DWORD dst_unused:UNUSED_PAD src0_sel:DWORD src1_sel:WORD_1
	v_fma_f16 v22, v26, v59, v22
	v_mul_f16_sdwa v26, v26, v59 dst_sel:DWORD dst_unused:UNUSED_PAD src0_sel:DWORD src1_sel:WORD_1
	v_fma_f16 v31, v51, v53, -v31
	v_add_f16_e32 v51, v20, v42
	v_add_f16_e32 v53, v23, v37
	v_fma_f16 v26, v55, v59, -v26
	v_sub_f16_e32 v52, v24, v44
	v_sub_f16_e32 v55, v27, v40
	v_add_f16_e32 v56, v25, v29
	v_sub_f16_e32 v57, v30, v28
	v_add_f16_e32 v58, v53, v51
	v_sub_f16_e32 v59, v53, v51
	v_sub_f16_e32 v51, v51, v56
	;; [unrolled: 1-line block ×3, first 2 shown]
	v_add_f16_e32 v61, v57, v55
	v_sub_f16_e32 v64, v57, v55
	v_sub_f16_e32 v55, v55, v52
	v_add_f16_e32 v56, v56, v58
	v_sub_f16_e32 v57, v52, v57
	v_add_f16_e32 v52, v61, v52
	v_add_f16_e32 v16, v16, v56
	v_mul_f16_e32 v51, 0x3a52, v51
	v_mul_f16_e32 v58, 0x2b26, v53
	;; [unrolled: 1-line block ×4, first 2 shown]
	v_fma_f16 v56, v56, s6, v16
	v_fma_f16 v53, v53, s5, v51
	v_fma_f16 v58, v59, s7, -v58
	v_fma_f16 v51, v59, s10, -v51
	v_fma_f16 v59, v57, s11, v61
	v_fma_f16 v55, v55, s4, -v61
	v_fma_f16 v57, v57, s17, -v64
	v_add_f16_e32 v53, v53, v56
	v_add_f16_e32 v58, v58, v56
	;; [unrolled: 1-line block ×3, first 2 shown]
	v_fma_f16 v56, v52, s16, v59
	v_fma_f16 v55, v52, s16, v55
	;; [unrolled: 1-line block ×3, first 2 shown]
	v_add_f16_e32 v59, v52, v51
	v_sub_f16_e32 v61, v58, v55
	v_add_f16_e32 v55, v55, v58
	v_sub_f16_e32 v51, v51, v52
	v_add_f16_e32 v52, v33, v47
	v_add_f16_e32 v58, v34, v45
	;; [unrolled: 1-line block ×3, first 2 shown]
	v_sub_f16_e32 v53, v53, v56
	v_sub_f16_e32 v56, v35, v48
	;; [unrolled: 1-line block ×3, first 2 shown]
	v_add_f16_e32 v67, v58, v52
	v_sub_f16_e32 v68, v58, v52
	v_sub_f16_e32 v52, v52, v65
	;; [unrolled: 1-line block ×3, first 2 shown]
	v_add_f16_e32 v69, v66, v64
	v_sub_f16_e32 v70, v66, v64
	v_sub_f16_e32 v64, v64, v56
	v_add_f16_e32 v65, v65, v67
	v_sub_f16_e32 v66, v56, v66
	v_add_f16_e32 v56, v69, v56
	v_add_f16_e32 v15, v15, v65
	v_mul_f16_e32 v52, 0x3a52, v52
	v_mul_f16_e32 v67, 0x2b26, v58
	;; [unrolled: 1-line block ×4, first 2 shown]
	v_fma_f16 v65, v65, s6, v15
	v_fma_f16 v58, v58, s5, v52
	v_fma_f16 v67, v68, s7, -v67
	v_fma_f16 v52, v68, s10, -v52
	v_fma_f16 v68, v66, s11, v69
	v_fma_f16 v64, v64, s4, -v69
	v_fma_f16 v66, v66, s17, -v70
	v_add_f16_e32 v58, v58, v65
	v_add_f16_e32 v67, v67, v65
	;; [unrolled: 1-line block ×3, first 2 shown]
	v_fma_f16 v65, v56, s16, v68
	v_fma_f16 v64, v56, s16, v64
	v_fma_f16 v56, v56, s16, v66
	v_add_f16_e32 v68, v56, v52
	v_sub_f16_e32 v56, v52, v56
	v_mov_b32_e32 v52, 0x3b8
	v_cndmask_b32_e64 v52, 0, v52, s[2:3]
	v_add3_u32 v52, 0, v52, v62
	ds_write_b16 v52, v16
	ds_write_b16 v52, v57 offset:136
	ds_write_b16 v52, v59 offset:272
	;; [unrolled: 1-line block ×6, first 2 shown]
	v_mov_b32_e32 v51, 1
	v_mul_u32_u24_e32 v16, 0x3b8, v54
	v_lshlrev_b32_sdwa v51, v51, v63 dst_sel:DWORD dst_unused:UNUSED_PAD src0_sel:DWORD src1_sel:BYTE_0
	v_add3_u32 v53, 0, v16, v51
	v_lshl_add_u32 v51, v60, 1, 0
	v_add_f16_e32 v66, v65, v58
	v_sub_f16_e32 v69, v67, v64
	v_add_f16_e32 v64, v64, v67
	v_sub_f16_e32 v58, v58, v65
	ds_write_b16 v53, v15
	ds_write_b16 v53, v66 offset:136
	ds_write_b16 v53, v68 offset:272
	;; [unrolled: 1-line block ×6, first 2 shown]
	s_and_saveexec_b64 s[2:3], s[0:1]
	s_cbranch_execz .LBB0_21
; %bb.20:
	v_add_f16_e32 v15, v17, v50
	v_add_f16_e32 v55, v18, v49
	;; [unrolled: 1-line block ×4, first 2 shown]
	v_sub_f16_e32 v54, v15, v16
	v_sub_f16_e32 v56, v16, v55
	v_add_f16_e32 v16, v16, v58
	v_sub_f16_e32 v58, v19, v31
	v_sub_f16_e32 v59, v26, v21
	;; [unrolled: 1-line block ×5, first 2 shown]
	v_add_f16_e32 v59, v59, v61
	v_sub_f16_e32 v15, v55, v15
	v_sub_f16_e32 v55, v61, v58
	v_mul_f16_e32 v54, 0x3a52, v54
	v_mul_f16_e32 v57, 0x2b26, v56
	v_add_f16_e32 v12, v12, v16
	v_mul_f16_e32 v62, 0x3846, v62
	v_add_f16_e32 v59, v59, v58
	v_mul_f16_e32 v58, 0xbb00, v55
	v_fma_f16 v56, v56, s5, v54
	v_fma_f16 v16, v16, s6, v12
	;; [unrolled: 1-line block ×3, first 2 shown]
	v_fma_f16 v54, v15, s10, -v54
	v_fma_f16 v58, v60, s17, -v58
	;; [unrolled: 1-line block ×4, first 2 shown]
	v_add_f16_e32 v56, v56, v16
	v_fma_f16 v63, v59, s16, v63
	v_add_f16_e32 v54, v54, v16
	v_fma_f16 v58, v59, s16, v58
	v_fma_f16 v55, v59, s16, v55
	v_add_f16_e32 v15, v15, v16
	v_sub_f16_e32 v64, v56, v63
	v_sub_f16_e32 v60, v54, v58
	v_add_f16_e32 v16, v55, v15
	v_sub_f16_e32 v15, v15, v55
	v_add_f16_e32 v54, v58, v54
	v_add_f16_e32 v55, v63, v56
	ds_write_b16 v51, v12 offset:2856
	ds_write_b16 v51, v55 offset:2992
	;; [unrolled: 1-line block ×7, first 2 shown]
.LBB0_21:
	s_or_b64 exec, exec, s[2:3]
	v_add_f16_e32 v12, v24, v44
	v_add_f16_e32 v16, v27, v40
	v_sub_f16_e32 v15, v20, v42
	v_sub_f16_e32 v20, v23, v37
	v_add_f16_e32 v23, v28, v30
	v_sub_f16_e32 v24, v29, v25
	v_add_f16_e32 v25, v16, v12
	v_sub_f16_e32 v27, v16, v12
	v_sub_f16_e32 v12, v12, v23
	;; [unrolled: 1-line block ×3, first 2 shown]
	v_add_f16_e32 v28, v24, v20
	v_sub_f16_e32 v29, v24, v20
	v_sub_f16_e32 v20, v20, v15
	v_add_f16_e32 v23, v23, v25
	v_sub_f16_e32 v24, v15, v24
	v_add_f16_e32 v15, v28, v15
	v_add_f16_e32 v37, v14, v23
	v_mul_f16_e32 v12, 0x3a52, v12
	v_mul_f16_e32 v14, 0x2b26, v16
	v_mul_f16_e32 v25, 0x3846, v29
	v_mul_f16_e32 v28, 0xbb00, v20
	v_fma_f16 v23, v23, s6, v37
	v_fma_f16 v16, v16, s5, v12
	v_fma_f16 v14, v27, s7, -v14
	v_fma_f16 v12, v27, s10, -v12
	v_fma_f16 v27, v24, s11, v25
	v_fma_f16 v20, v20, s4, -v25
	v_fma_f16 v24, v24, s17, -v28
	v_add_f16_e32 v16, v16, v23
	v_add_f16_e32 v14, v14, v23
	;; [unrolled: 1-line block ×3, first 2 shown]
	v_fma_f16 v23, v15, s16, v27
	v_fma_f16 v20, v15, s16, v20
	;; [unrolled: 1-line block ×3, first 2 shown]
	v_sub_f16_e32 v42, v12, v15
	v_add_f16_e32 v55, v15, v12
	v_add_f16_e32 v12, v35, v48
	;; [unrolled: 1-line block ×3, first 2 shown]
	v_sub_f16_e32 v40, v16, v23
	v_add_f16_e32 v44, v20, v14
	v_sub_f16_e32 v54, v14, v20
	v_add_f16_e32 v56, v23, v16
	v_sub_f16_e32 v14, v33, v47
	v_sub_f16_e32 v16, v34, v45
	v_add_f16_e32 v20, v39, v43
	v_sub_f16_e32 v23, v41, v36
	v_add_f16_e32 v24, v15, v12
	v_sub_f16_e32 v25, v15, v12
	v_sub_f16_e32 v12, v12, v20
	;; [unrolled: 1-line block ×3, first 2 shown]
	v_add_f16_e32 v27, v23, v16
	v_sub_f16_e32 v28, v23, v16
	v_sub_f16_e32 v16, v16, v14
	v_add_f16_e32 v20, v20, v24
	v_sub_f16_e32 v23, v14, v23
	v_add_f16_e32 v14, v27, v14
	v_add_f16_e32 v36, v13, v20
	v_mul_f16_e32 v12, 0x3a52, v12
	v_mul_f16_e32 v13, 0x2b26, v15
	;; [unrolled: 1-line block ×4, first 2 shown]
	v_fma_f16 v20, v20, s6, v36
	v_fma_f16 v15, v15, s5, v12
	v_fma_f16 v13, v25, s7, -v13
	v_fma_f16 v12, v25, s10, -v12
	v_fma_f16 v25, v23, s11, v24
	v_fma_f16 v16, v16, s4, -v24
	v_fma_f16 v23, v23, s17, -v27
	v_add_f16_e32 v15, v15, v20
	v_add_f16_e32 v13, v13, v20
	;; [unrolled: 1-line block ×3, first 2 shown]
	v_fma_f16 v20, v14, s16, v25
	v_fma_f16 v16, v14, s16, v16
	;; [unrolled: 1-line block ×3, first 2 shown]
	v_sub_f16_e32 v38, v15, v20
	v_sub_f16_e32 v39, v12, v14
	v_add_f16_e32 v41, v16, v13
	v_sub_f16_e32 v43, v13, v16
	v_add_f16_e32 v45, v14, v12
	v_add_f16_e32 v46, v20, v15
	s_waitcnt lgkmcnt(0)
	s_barrier
	ds_read_u16 v12, v3
	ds_read_u16 v16, v3 offset:238
	ds_read_u16 v25, v3 offset:476
	;; [unrolled: 1-line block ×15, first 2 shown]
	s_waitcnt lgkmcnt(0)
	s_barrier
	ds_write_b16 v52, v37
	ds_write_b16 v52, v40 offset:136
	ds_write_b16 v52, v42 offset:272
	;; [unrolled: 1-line block ×6, first 2 shown]
	ds_write_b16 v53, v36
	ds_write_b16 v53, v38 offset:136
	ds_write_b16 v53, v39 offset:272
	;; [unrolled: 1-line block ×6, first 2 shown]
	s_and_saveexec_b64 s[2:3], s[0:1]
	s_cbranch_execz .LBB0_23
; %bb.22:
	v_add_f16_e32 v19, v19, v31
	v_add_f16_e32 v10, v10, v32
	;; [unrolled: 1-line block ×3, first 2 shown]
	v_sub_f16_e32 v6, v22, v6
	v_add_f16_e32 v22, v10, v19
	v_sub_f16_e32 v26, v10, v19
	v_sub_f16_e32 v19, v19, v21
	;; [unrolled: 1-line block ×3, first 2 shown]
	v_mul_f16_e32 v19, 0x3a52, v19
	s_movk_i32 s0, 0x2b26
	v_sub_f16_e32 v18, v18, v49
	v_add_f16_e32 v21, v21, v22
	v_mul_f16_e32 v22, 0x2b26, v10
	v_fma_f16 v10, v10, s0, v19
	s_movk_i32 s0, 0x39e0
	v_sub_f16_e32 v17, v17, v50
	v_add_f16_e32 v31, v6, v18
	v_sub_f16_e32 v32, v6, v18
	v_fma_f16 v22, v26, s0, -v22
	s_mov_b32 s0, 0xb9e0
	v_sub_f16_e32 v6, v17, v6
	v_sub_f16_e32 v18, v18, v17
	v_add_f16_e32 v17, v31, v17
	v_mul_f16_e32 v31, 0x3846, v32
	v_fma_f16 v19, v26, s0, -v19
	s_mov_b32 s0, 0xb574
	v_add_f16_e32 v11, v11, v21
	s_mov_b32 s1, 0xbb00
	v_mul_f16_e32 v32, 0xbb00, v18
	s_mov_b32 s4, 0xbcab
	v_fma_f16 v26, v6, s0, v31
	s_movk_i32 s0, 0x3574
	v_fma_f16 v21, v21, s4, v11
	v_fma_f16 v18, v18, s1, -v31
	v_fma_f16 v6, v6, s0, -v32
	s_mov_b32 s0, 0xb70e
	v_add_f16_e32 v10, v10, v21
	v_add_f16_e32 v22, v22, v21
	;; [unrolled: 1-line block ×3, first 2 shown]
	v_fma_f16 v21, v17, s0, v26
	v_fma_f16 v18, v17, s0, v18
	;; [unrolled: 1-line block ×3, first 2 shown]
	v_sub_f16_e32 v17, v10, v21
	v_sub_f16_e32 v26, v19, v6
	v_add_f16_e32 v31, v18, v22
	v_sub_f16_e32 v18, v22, v18
	v_add_f16_e32 v6, v6, v19
	v_add_f16_e32 v10, v21, v10
	ds_write_b16 v51, v11 offset:2856
	ds_write_b16 v51, v17 offset:2992
	;; [unrolled: 1-line block ×7, first 2 shown]
.LBB0_23:
	s_or_b64 exec, exec, s[2:3]
	s_waitcnt lgkmcnt(0)
	s_barrier
	s_and_saveexec_b64 s[0:1], vcc
	s_cbranch_execz .LBB0_25
; %bb.24:
	v_mul_u32_u24_e32 v6, 3, v4
	v_lshlrev_b32_e32 v6, 2, v6
	global_load_dwordx3 v[17:19], v6, s[8:9] offset:1836
	v_mov_b32_e32 v6, 0xfffffe9b
	v_mov_b32_e32 v11, 0
	v_mad_u32_u24 v10, v4, 3, v6
	v_lshlrev_b64 v[21:22], 2, v[10:11]
	v_mov_b32_e32 v26, s9
	v_add_co_u32_e32 v21, vcc, s8, v21
	v_addc_co_u32_e32 v22, vcc, v26, v22, vcc
	v_mov_b32_e32 v6, 0xfffffd36
	global_load_dwordx3 v[36:38], v[21:22], off offset:1836
	v_mad_u32_u24 v10, v4, 3, v6
	v_lshlrev_b64 v[10:11], 2, v[10:11]
	v_mul_u32_u24_e32 v32, 3, v2
	v_add_co_u32_e32 v10, vcc, s8, v10
	v_addc_co_u32_e32 v11, vcc, v26, v11, vcc
	global_load_dwordx3 v[39:41], v[10:11], off offset:1836
	v_lshlrev_b32_e32 v32, 2, v32
	ds_read_u16 v6, v3 offset:1666
	ds_read_u16 v10, v3 offset:1428
	;; [unrolled: 1-line block ×11, first 2 shown]
	global_load_dwordx3 v[42:44], v32, s[8:9] offset:1836
	ds_read_u16 v51, v3 offset:2618
	ds_read_u16 v55, v3 offset:2380
	s_mov_b32 s3, 0x44d72045
	s_movk_i32 s2, 0x594
	s_waitcnt vmcnt(3)
	v_lshrrev_b32_e32 v32, 16, v18
	v_mul_f16_e32 v49, v35, v18
	v_mul_f16_sdwa v50, v33, v17 dst_sel:DWORD dst_unused:UNUSED_PAD src0_sel:DWORD src1_sel:WORD_1
	v_mul_f16_sdwa v52, v34, v19 dst_sel:DWORD dst_unused:UNUSED_PAD src0_sel:DWORD src1_sel:WORD_1
	s_waitcnt lgkmcnt(12)
	v_mul_f16_sdwa v53, v6, v17 dst_sel:DWORD dst_unused:UNUSED_PAD src0_sel:DWORD src1_sel:WORD_1
	s_waitcnt lgkmcnt(5)
	;; [unrolled: 2-line block ×3, first 2 shown]
	v_fma_f16 v49, v51, v32, v49
	v_fma_f16 v6, v6, v17, -v50
	v_fma_f16 v45, v45, v19, -v52
	ds_read_u16 v52, v3 offset:2142
	v_mul_f16_e32 v32, v35, v32
	v_fma_f16 v17, v33, v17, v53
	v_fma_f16 v19, v34, v19, v54
	v_sub_f16_e32 v33, v30, v49
	v_sub_f16_e32 v34, v6, v45
	v_fma_f16 v18, v51, v18, -v32
	v_add_f16_e32 v32, v33, v34
	v_sub_f16_e32 v18, v22, v18
	v_fma_f16 v6, v6, 2.0, -v34
	s_waitcnt vmcnt(2)
	v_lshrrev_b32_e32 v34, 16, v37
	v_mul_f16_e32 v35, v27, v37
	v_mul_f16_sdwa v45, v28, v36 dst_sel:DWORD dst_unused:UNUSED_PAD src0_sel:DWORD src1_sel:WORD_1
	v_mul_f16_sdwa v49, v29, v38 dst_sel:DWORD dst_unused:UNUSED_PAD src0_sel:DWORD src1_sel:WORD_1
	;; [unrolled: 1-line block ×3, first 2 shown]
	v_fma_f16 v22, v22, 2.0, -v18
	s_waitcnt lgkmcnt(1)
	v_fma_f16 v35, v55, v34, v35
	v_fma_f16 v10, v10, v36, -v45
	v_fma_f16 v45, v46, v38, -v49
	v_mul_f16_e32 v27, v27, v34
	v_mul_f16_sdwa v51, v46, v38 dst_sel:DWORD dst_unused:UNUSED_PAD src0_sel:DWORD src1_sel:WORD_1
	v_sub_f16_e32 v34, v22, v6
	v_sub_f16_e32 v6, v25, v35
	;; [unrolled: 1-line block ×3, first 2 shown]
	v_fma_f16 v27, v55, v37, -v27
	v_fma_f16 v28, v28, v36, v50
	v_fma_f16 v29, v29, v38, v51
	v_add_f16_e32 v36, v6, v35
	v_sub_f16_e32 v27, v26, v27
	v_sub_f16_e32 v29, v28, v29
	v_fma_f16 v25, v25, 2.0, -v6
	v_fma_f16 v37, v6, 2.0, -v36
	v_fma_f16 v6, v26, 2.0, -v27
	v_fma_f16 v10, v10, 2.0, -v35
	ds_read_u16 v35, v3 offset:1904
	v_fma_f16 v28, v28, 2.0, -v29
	v_sub_f16_e32 v29, v27, v29
	v_sub_f16_e32 v26, v6, v10
	s_waitcnt vmcnt(1)
	v_mul_f16_sdwa v45, v20, v39 dst_sel:DWORD dst_unused:UNUSED_PAD src0_sel:DWORD src1_sel:WORD_1
	v_fma_f16 v38, v27, 2.0, -v29
	v_fma_f16 v27, v6, 2.0, -v26
	v_lshrrev_b32_e32 v6, 16, v40
	v_mul_f16_e32 v10, v24, v40
	v_fma_f16 v45, v11, v39, -v45
	v_mul_f16_sdwa v46, v23, v41 dst_sel:DWORD dst_unused:UNUSED_PAD src0_sel:DWORD src1_sel:WORD_1
	v_mul_f16_sdwa v11, v11, v39 dst_sel:DWORD dst_unused:UNUSED_PAD src0_sel:DWORD src1_sel:WORD_1
	s_waitcnt lgkmcnt(1)
	v_fma_f16 v10, v52, v6, v10
	v_fma_f16 v46, v47, v41, -v46
	v_mul_f16_e32 v6, v24, v6
	v_fma_f16 v11, v20, v39, v11
	v_mul_f16_sdwa v20, v47, v41 dst_sel:DWORD dst_unused:UNUSED_PAD src0_sel:DWORD src1_sel:WORD_1
	v_sub_f16_e32 v10, v16, v10
	v_sub_f16_e32 v46, v45, v46
	v_fma_f16 v6, v52, v40, -v6
	v_fma_f16 v20, v23, v41, v20
	v_add_f16_e32 v49, v10, v46
	v_sub_f16_e32 v6, v31, v6
	v_sub_f16_e32 v20, v11, v20
	v_fma_f16 v50, v10, 2.0, -v49
	ds_read_u16 v3, v3
	v_sub_f16_e32 v23, v6, v20
	v_fma_f16 v10, v16, 2.0, -v10
	v_fma_f16 v11, v11, 2.0, -v20
	;; [unrolled: 1-line block ×3, first 2 shown]
	v_sub_f16_e32 v16, v10, v11
	v_fma_f16 v6, v31, 2.0, -v6
	v_fma_f16 v11, v45, 2.0, -v46
	v_sub_f16_e32 v20, v6, v11
	v_fma_f16 v31, v10, 2.0, -v16
	s_waitcnt vmcnt(0)
	v_lshrrev_b32_e32 v10, 16, v43
	v_mul_f16_e32 v11, v13, v43
	s_waitcnt lgkmcnt(1)
	v_fma_f16 v11, v35, v10, v11
	v_mul_f16_e32 v10, v13, v10
	v_fma_f16 v10, v35, v43, -v10
	v_mul_f16_sdwa v39, v14, v42 dst_sel:DWORD dst_unused:UNUSED_PAD src0_sel:DWORD src1_sel:WORD_1
	v_mul_f16_sdwa v40, v15, v44 dst_sel:DWORD dst_unused:UNUSED_PAD src0_sel:DWORD src1_sel:WORD_1
	s_waitcnt lgkmcnt(0)
	v_sub_f16_e32 v13, v3, v10
	v_mul_f16_sdwa v10, v21, v42 dst_sel:DWORD dst_unused:UNUSED_PAD src0_sel:DWORD src1_sel:WORD_1
	v_fma_f16 v39, v21, v42, -v39
	v_fma_f16 v40, v48, v44, -v40
	v_fma_f16 v10, v14, v42, v10
	v_mul_f16_sdwa v14, v48, v44 dst_sel:DWORD dst_unused:UNUSED_PAD src0_sel:DWORD src1_sel:WORD_1
	v_sub_f16_e32 v11, v12, v11
	v_sub_f16_e32 v40, v39, v40
	v_fma_f16 v14, v15, v44, v14
	v_add_f16_e32 v41, v11, v40
	v_sub_f16_e32 v14, v10, v14
	v_fma_f16 v45, v11, 2.0, -v41
	v_fma_f16 v35, v12, 2.0, -v11
	;; [unrolled: 1-line block ×3, first 2 shown]
	v_mad_u64_u32 v[10:11], s[0:1], s12, v2, 0
	v_sub_f16_e32 v15, v13, v14
	v_fma_f16 v21, v13, 2.0, -v15
	v_fma_f16 v13, v3, 2.0, -v13
	v_mov_b32_e32 v3, v11
	v_sub_f16_e32 v14, v35, v12
	v_mad_u64_u32 v[11:12], s[0:1], s13, v2, v[3:4]
	v_fma_f16 v39, v39, 2.0, -v40
	v_sub_f16_e32 v39, v13, v39
	v_fma_f16 v3, v35, 2.0, -v14
	v_fma_f16 v12, v13, 2.0, -v39
	v_mov_b32_e32 v13, s15
	v_add_co_u32_e32 v35, vcc, s14, v0
	v_addc_co_u32_e32 v40, vcc, v13, v1, vcc
	v_lshlrev_b64 v[0:1], 2, v[10:11]
	v_mad_u64_u32 v[10:11], s[0:1], s12, v9, 0
	v_pack_b32_f16 v42, v3, v12
	v_add_co_u32_e32 v0, vcc, v35, v0
	v_mov_b32_e32 v3, v11
	v_mad_u64_u32 v[11:12], s[0:1], s13, v9, v[3:4]
	v_add_u32_e32 v9, 0x3b8, v2
	v_mad_u64_u32 v[12:13], s[0:1], s12, v9, 0
	v_addc_co_u32_e32 v1, vcc, v40, v1, vcc
	v_mov_b32_e32 v3, v13
	global_store_dword v[0:1], v42, off
	v_lshlrev_b64 v[0:1], 2, v[10:11]
	v_mad_u64_u32 v[9:10], s[0:1], s13, v9, v[3:4]
	v_add_co_u32_e32 v0, vcc, v35, v0
	v_addc_co_u32_e32 v1, vcc, v40, v1, vcc
	v_pack_b32_f16 v3, v45, v21
	global_store_dword v[0:1], v3, off
	v_mov_b32_e32 v13, v9
	v_add_u32_e32 v3, 0x594, v2
	v_lshlrev_b64 v[0:1], 2, v[12:13]
	v_mad_u64_u32 v[9:10], s[0:1], s12, v3, 0
	v_add_co_u32_e32 v0, vcc, v35, v0
	v_addc_co_u32_e32 v1, vcc, v40, v1, vcc
	v_pack_b32_f16 v11, v14, v39
	global_store_dword v[0:1], v11, off
	v_mov_b32_e32 v0, v10
	v_mad_u64_u32 v[0:1], s[0:1], s13, v3, v[0:1]
	v_mad_u64_u32 v[11:12], s[0:1], s12, v8, 0
	v_mov_b32_e32 v10, v0
	v_lshlrev_b64 v[0:1], 2, v[9:10]
	v_mov_b32_e32 v3, v12
	v_mad_u64_u32 v[8:9], s[0:1], s13, v8, v[3:4]
	v_add_co_u32_e32 v0, vcc, v35, v0
	v_mov_b32_e32 v12, v8
	v_mad_u64_u32 v[8:9], s[0:1], s12, v7, 0
	v_addc_co_u32_e32 v1, vcc, v40, v1, vcc
	v_pack_b32_f16 v3, v41, v15
	v_fma_f16 v6, v6, 2.0, -v20
	global_store_dword v[0:1], v3, off
	v_mov_b32_e32 v3, v9
	v_lshlrev_b64 v[0:1], 2, v[11:12]
	v_pack_b32_f16 v12, v31, v6
	v_mad_u64_u32 v[6:7], s[0:1], s13, v7, v[3:4]
	v_add_u32_e32 v7, 0x42f, v2
	v_mad_u64_u32 v[10:11], s[0:1], s12, v7, 0
	v_add_co_u32_e32 v0, vcc, v35, v0
	v_mov_b32_e32 v3, v11
	v_addc_co_u32_e32 v1, vcc, v40, v1, vcc
	v_mov_b32_e32 v9, v6
	v_mad_u64_u32 v[6:7], s[0:1], s13, v7, v[3:4]
	global_store_dword v[0:1], v12, off
	v_lshlrev_b64 v[0:1], 2, v[8:9]
	v_pack_b32_f16 v3, v50, v24
	v_add_co_u32_e32 v0, vcc, v35, v0
	v_addc_co_u32_e32 v1, vcc, v40, v1, vcc
	v_mov_b32_e32 v11, v6
	v_add_u32_e32 v6, 0x60b, v2
	global_store_dword v[0:1], v3, off
	v_mad_u64_u32 v[2:3], s[0:1], s12, v6, 0
	v_mul_hi_u32 v8, v5, s3
	v_lshlrev_b64 v[0:1], 2, v[10:11]
	v_mad_u64_u32 v[6:7], s[0:1], s13, v6, v[3:4]
	v_lshrrev_b32_e32 v3, 7, v8
	v_mad_u32_u24 v10, v3, s2, v5
	v_mad_u64_u32 v[7:8], s[0:1], s12, v10, 0
	v_add_co_u32_e32 v0, vcc, v35, v0
	v_addc_co_u32_e32 v1, vcc, v40, v1, vcc
	v_pack_b32_f16 v9, v16, v20
	v_mov_b32_e32 v3, v6
	global_store_dword v[0:1], v9, off
	v_lshlrev_b64 v[0:1], 2, v[2:3]
	v_mov_b32_e32 v2, v8
	v_mad_u64_u32 v[2:3], s[0:1], s13, v10, v[2:3]
	v_add_co_u32_e32 v0, vcc, v35, v0
	v_addc_co_u32_e32 v1, vcc, v40, v1, vcc
	v_pack_b32_f16 v3, v49, v23
	v_add_u32_e32 v5, 0x1dc, v10
	global_store_dword v[0:1], v3, off
	v_mov_b32_e32 v8, v2
	v_mad_u64_u32 v[2:3], s[0:1], s12, v5, 0
	v_add_u32_e32 v9, 0x3b8, v10
	v_lshlrev_b64 v[0:1], 2, v[7:8]
	v_mad_u64_u32 v[5:6], s[0:1], s13, v5, v[3:4]
	v_mad_u64_u32 v[6:7], s[0:1], s12, v9, 0
	v_sub_f16_e32 v28, v25, v28
	v_fma_f16 v25, v25, 2.0, -v28
	v_add_co_u32_e32 v0, vcc, v35, v0
	v_addc_co_u32_e32 v1, vcc, v40, v1, vcc
	v_pack_b32_f16 v8, v25, v27
	v_mov_b32_e32 v3, v5
	global_store_dword v[0:1], v8, off
	v_lshlrev_b64 v[0:1], 2, v[2:3]
	v_mov_b32_e32 v2, v7
	v_mad_u64_u32 v[2:3], s[0:1], s13, v9, v[2:3]
	v_add_co_u32_e32 v0, vcc, v35, v0
	v_addc_co_u32_e32 v1, vcc, v40, v1, vcc
	v_pack_b32_f16 v3, v37, v38
	v_add_u32_e32 v5, 0x594, v10
	global_store_dword v[0:1], v3, off
	v_mov_b32_e32 v7, v2
	v_mad_u64_u32 v[2:3], s[0:1], s12, v5, 0
	v_lshlrev_b64 v[0:1], 2, v[6:7]
	v_pack_b32_f16 v7, v36, v29
	v_mad_u64_u32 v[5:6], s[0:1], s13, v5, v[3:4]
	v_mul_hi_u32 v6, v4, s3
	v_add_co_u32_e32 v0, vcc, v35, v0
	v_addc_co_u32_e32 v1, vcc, v40, v1, vcc
	v_pack_b32_f16 v3, v28, v26
	global_store_dword v[0:1], v3, off
	v_mov_b32_e32 v3, v5
	v_lshlrev_b64 v[0:1], 2, v[2:3]
	v_lshrrev_b32_e32 v2, 7, v6
	v_mad_u32_u24 v6, v2, s2, v4
	v_mad_u64_u32 v[2:3], s[0:1], s12, v6, 0
	v_add_u32_e32 v8, 0x1dc, v6
	v_add_co_u32_e32 v0, vcc, v35, v0
	v_mad_u64_u32 v[3:4], s[0:1], s13, v6, v[3:4]
	v_mad_u64_u32 v[4:5], s[0:1], s12, v8, 0
	v_addc_co_u32_e32 v1, vcc, v40, v1, vcc
	global_store_dword v[0:1], v7, off
	v_lshlrev_b64 v[0:1], 2, v[2:3]
	v_mov_b32_e32 v2, v5
	v_sub_f16_e32 v19, v17, v19
	v_mad_u64_u32 v[2:3], s[0:1], s13, v8, v[2:3]
	v_fma_f16 v30, v30, 2.0, -v33
	v_fma_f16 v17, v17, 2.0, -v19
	v_sub_f16_e32 v17, v30, v17
	v_fma_f16 v30, v30, 2.0, -v17
	v_fma_f16 v22, v22, 2.0, -v34
	v_add_co_u32_e32 v0, vcc, v35, v0
	v_addc_co_u32_e32 v1, vcc, v40, v1, vcc
	v_pack_b32_f16 v3, v30, v22
	v_mov_b32_e32 v5, v2
	global_store_dword v[0:1], v3, off
	v_lshlrev_b64 v[0:1], 2, v[4:5]
	v_add_u32_e32 v4, 0x3b8, v6
	v_mad_u64_u32 v[2:3], s[0:1], s12, v4, 0
	v_add_u32_e32 v6, 0x594, v6
	v_sub_f16_e32 v19, v18, v19
	v_mad_u64_u32 v[3:4], s[0:1], s13, v4, v[3:4]
	v_mad_u64_u32 v[4:5], s[0:1], s12, v6, 0
	v_fma_f16 v33, v33, 2.0, -v32
	v_fma_f16 v18, v18, 2.0, -v19
	v_add_co_u32_e32 v0, vcc, v35, v0
	v_addc_co_u32_e32 v1, vcc, v40, v1, vcc
	v_pack_b32_f16 v7, v33, v18
	global_store_dword v[0:1], v7, off
	v_lshlrev_b64 v[0:1], 2, v[2:3]
	v_mov_b32_e32 v2, v5
	v_mad_u64_u32 v[2:3], s[0:1], s13, v6, v[2:3]
	v_add_co_u32_e32 v0, vcc, v35, v0
	v_addc_co_u32_e32 v1, vcc, v40, v1, vcc
	v_pack_b32_f16 v3, v17, v34
	v_mov_b32_e32 v5, v2
	global_store_dword v[0:1], v3, off
	v_lshlrev_b64 v[0:1], 2, v[4:5]
	v_pack_b32_f16 v2, v32, v19
	v_add_co_u32_e32 v0, vcc, v35, v0
	v_addc_co_u32_e32 v1, vcc, v40, v1, vcc
	global_store_dword v[0:1], v2, off
.LBB0_25:
	s_endpgm
	.section	.rodata,"a",@progbits
	.p2align	6, 0x0
	.amdhsa_kernel fft_rtc_back_len1904_factors_17_2_2_7_4_wgs_119_tpt_119_halfLds_half_ip_CI_sbrr_dirReg
		.amdhsa_group_segment_fixed_size 0
		.amdhsa_private_segment_fixed_size 0
		.amdhsa_kernarg_size 88
		.amdhsa_user_sgpr_count 6
		.amdhsa_user_sgpr_private_segment_buffer 1
		.amdhsa_user_sgpr_dispatch_ptr 0
		.amdhsa_user_sgpr_queue_ptr 0
		.amdhsa_user_sgpr_kernarg_segment_ptr 1
		.amdhsa_user_sgpr_dispatch_id 0
		.amdhsa_user_sgpr_flat_scratch_init 0
		.amdhsa_user_sgpr_private_segment_size 0
		.amdhsa_uses_dynamic_stack 0
		.amdhsa_system_sgpr_private_segment_wavefront_offset 0
		.amdhsa_system_sgpr_workgroup_id_x 1
		.amdhsa_system_sgpr_workgroup_id_y 0
		.amdhsa_system_sgpr_workgroup_id_z 0
		.amdhsa_system_sgpr_workgroup_info 0
		.amdhsa_system_vgpr_workitem_id 0
		.amdhsa_next_free_vgpr 82
		.amdhsa_next_free_sgpr 25
		.amdhsa_reserve_vcc 1
		.amdhsa_reserve_flat_scratch 0
		.amdhsa_float_round_mode_32 0
		.amdhsa_float_round_mode_16_64 0
		.amdhsa_float_denorm_mode_32 3
		.amdhsa_float_denorm_mode_16_64 3
		.amdhsa_dx10_clamp 1
		.amdhsa_ieee_mode 1
		.amdhsa_fp16_overflow 0
		.amdhsa_exception_fp_ieee_invalid_op 0
		.amdhsa_exception_fp_denorm_src 0
		.amdhsa_exception_fp_ieee_div_zero 0
		.amdhsa_exception_fp_ieee_overflow 0
		.amdhsa_exception_fp_ieee_underflow 0
		.amdhsa_exception_fp_ieee_inexact 0
		.amdhsa_exception_int_div_zero 0
	.end_amdhsa_kernel
	.text
.Lfunc_end0:
	.size	fft_rtc_back_len1904_factors_17_2_2_7_4_wgs_119_tpt_119_halfLds_half_ip_CI_sbrr_dirReg, .Lfunc_end0-fft_rtc_back_len1904_factors_17_2_2_7_4_wgs_119_tpt_119_halfLds_half_ip_CI_sbrr_dirReg
                                        ; -- End function
	.section	.AMDGPU.csdata,"",@progbits
; Kernel info:
; codeLenInByte = 15572
; NumSgprs: 29
; NumVgprs: 82
; ScratchSize: 0
; MemoryBound: 0
; FloatMode: 240
; IeeeMode: 1
; LDSByteSize: 0 bytes/workgroup (compile time only)
; SGPRBlocks: 3
; VGPRBlocks: 20
; NumSGPRsForWavesPerEU: 29
; NumVGPRsForWavesPerEU: 82
; Occupancy: 3
; WaveLimiterHint : 1
; COMPUTE_PGM_RSRC2:SCRATCH_EN: 0
; COMPUTE_PGM_RSRC2:USER_SGPR: 6
; COMPUTE_PGM_RSRC2:TRAP_HANDLER: 0
; COMPUTE_PGM_RSRC2:TGID_X_EN: 1
; COMPUTE_PGM_RSRC2:TGID_Y_EN: 0
; COMPUTE_PGM_RSRC2:TGID_Z_EN: 0
; COMPUTE_PGM_RSRC2:TIDIG_COMP_CNT: 0
	.type	__hip_cuid_fe854a89d8419e0d,@object ; @__hip_cuid_fe854a89d8419e0d
	.section	.bss,"aw",@nobits
	.globl	__hip_cuid_fe854a89d8419e0d
__hip_cuid_fe854a89d8419e0d:
	.byte	0                               ; 0x0
	.size	__hip_cuid_fe854a89d8419e0d, 1

	.ident	"AMD clang version 19.0.0git (https://github.com/RadeonOpenCompute/llvm-project roc-6.4.0 25133 c7fe45cf4b819c5991fe208aaa96edf142730f1d)"
	.section	".note.GNU-stack","",@progbits
	.addrsig
	.addrsig_sym __hip_cuid_fe854a89d8419e0d
	.amdgpu_metadata
---
amdhsa.kernels:
  - .args:
      - .actual_access:  read_only
        .address_space:  global
        .offset:         0
        .size:           8
        .value_kind:     global_buffer
      - .offset:         8
        .size:           8
        .value_kind:     by_value
      - .actual_access:  read_only
        .address_space:  global
        .offset:         16
        .size:           8
        .value_kind:     global_buffer
      - .actual_access:  read_only
        .address_space:  global
        .offset:         24
        .size:           8
        .value_kind:     global_buffer
      - .offset:         32
        .size:           8
        .value_kind:     by_value
      - .actual_access:  read_only
        .address_space:  global
        .offset:         40
        .size:           8
        .value_kind:     global_buffer
      - .actual_access:  read_only
        .address_space:  global
        .offset:         48
        .size:           8
        .value_kind:     global_buffer
      - .offset:         56
        .size:           4
        .value_kind:     by_value
      - .actual_access:  read_only
        .address_space:  global
        .offset:         64
        .size:           8
        .value_kind:     global_buffer
      - .actual_access:  read_only
        .address_space:  global
        .offset:         72
        .size:           8
        .value_kind:     global_buffer
      - .address_space:  global
        .offset:         80
        .size:           8
        .value_kind:     global_buffer
    .group_segment_fixed_size: 0
    .kernarg_segment_align: 8
    .kernarg_segment_size: 88
    .language:       OpenCL C
    .language_version:
      - 2
      - 0
    .max_flat_workgroup_size: 119
    .name:           fft_rtc_back_len1904_factors_17_2_2_7_4_wgs_119_tpt_119_halfLds_half_ip_CI_sbrr_dirReg
    .private_segment_fixed_size: 0
    .sgpr_count:     29
    .sgpr_spill_count: 0
    .symbol:         fft_rtc_back_len1904_factors_17_2_2_7_4_wgs_119_tpt_119_halfLds_half_ip_CI_sbrr_dirReg.kd
    .uniform_work_group_size: 1
    .uses_dynamic_stack: false
    .vgpr_count:     82
    .vgpr_spill_count: 0
    .wavefront_size: 64
amdhsa.target:   amdgcn-amd-amdhsa--gfx906
amdhsa.version:
  - 1
  - 2
...

	.end_amdgpu_metadata
